;; amdgpu-corpus repo=ROCm/rocFFT kind=compiled arch=gfx906 opt=O3
	.text
	.amdgcn_target "amdgcn-amd-amdhsa--gfx906"
	.amdhsa_code_object_version 6
	.protected	bluestein_single_back_len1053_dim1_half_op_CI_CI ; -- Begin function bluestein_single_back_len1053_dim1_half_op_CI_CI
	.globl	bluestein_single_back_len1053_dim1_half_op_CI_CI
	.p2align	8
	.type	bluestein_single_back_len1053_dim1_half_op_CI_CI,@function
bluestein_single_back_len1053_dim1_half_op_CI_CI: ; @bluestein_single_back_len1053_dim1_half_op_CI_CI
; %bb.0:
	s_load_dwordx4 s[16:19], s[4:5], 0x28
	v_mul_u32_u24_e32 v1, 0x231, v0
	v_add_u32_sdwa v12, s6, v1 dst_sel:DWORD dst_unused:UNUSED_PAD src0_sel:DWORD src1_sel:WORD_1
	v_mov_b32_e32 v13, 0
	s_waitcnt lgkmcnt(0)
	v_cmp_gt_u64_e32 vcc, s[16:17], v[12:13]
	s_and_saveexec_b64 s[0:1], vcc
	s_cbranch_execz .LBB0_10
; %bb.1:
	s_load_dwordx4 s[0:3], s[4:5], 0x18
	s_load_dwordx4 s[12:15], s[4:5], 0x0
                                        ; implicit-def: $vgpr75
                                        ; implicit-def: $vgpr76
                                        ; implicit-def: $vgpr78
                                        ; implicit-def: $vgpr77
                                        ; implicit-def: $vgpr79
	s_waitcnt lgkmcnt(0)
	s_load_dwordx4 s[8:11], s[0:1], 0x0
	s_movk_i32 s1, 0x75
	v_mul_lo_u16_sdwa v1, v1, s1 dst_sel:DWORD dst_unused:UNUSED_PAD src0_sel:WORD_1 src1_sel:DWORD
	v_sub_u16_e32 v44, v0, v1
	v_lshlrev_b32_e32 v35, 2, v44
	s_waitcnt lgkmcnt(0)
	v_mad_u64_u32 v[0:1], s[6:7], s10, v12, 0
	v_mad_u64_u32 v[2:3], s[6:7], s8, v44, 0
	s_mul_i32 s0, s9, 0x57c
	s_mul_i32 s10, s8, 0x57c
	v_mad_u64_u32 v[4:5], s[6:7], s11, v12, v[1:2]
	global_load_dword v45, v35, s[12:13]
	v_mad_u64_u32 v[5:6], s[6:7], s9, v44, v[3:4]
	v_mov_b32_e32 v1, v4
	v_lshlrev_b64 v[0:1], 2, v[0:1]
	v_mov_b32_e32 v6, s19
	v_mov_b32_e32 v3, v5
	v_add_co_u32_e32 v4, vcc, s18, v0
	v_addc_co_u32_e32 v5, vcc, v6, v1, vcc
	v_lshlrev_b64 v[0:1], 2, v[2:3]
	s_mul_hi_u32 s6, s8, 0x57c
	v_add_co_u32_e32 v0, vcc, v4, v0
	v_addc_co_u32_e32 v1, vcc, v5, v1, vcc
	s_add_i32 s0, s6, s0
	v_mov_b32_e32 v3, s0
	v_add_co_u32_e32 v2, vcc, s10, v0
	v_addc_co_u32_e32 v3, vcc, v1, v3, vcc
	global_load_dword v4, v[0:1], off
	global_load_dword v5, v[2:3], off
	global_load_dword v43, v35, s[12:13] offset:1404
	v_mov_b32_e32 v1, s0
	v_add_co_u32_e32 v0, vcc, s10, v2
	v_addc_co_u32_e32 v1, vcc, v3, v1, vcc
	v_mov_b32_e32 v3, 0xfffff6dc
	global_load_dword v2, v[0:1], off
	global_load_dword v42, v35, s[12:13] offset:2808
	v_mad_u64_u32 v[0:1], s[6:7], s8, v3, v[0:1]
	s_mul_i32 s6, s9, 0xfffff6dc
	s_sub_i32 s9, s6, s8
	v_add_u32_e32 v1, s9, v1
	global_load_dword v6, v[0:1], off
	global_load_dword v41, v35, s[12:13] offset:468
	v_mov_b32_e32 v7, s0
	v_add_co_u32_e32 v0, vcc, s10, v0
	v_addc_co_u32_e32 v1, vcc, v1, v7, vcc
	global_load_dword v7, v[0:1], off
	global_load_dword v40, v35, s[12:13] offset:1872
	v_mov_b32_e32 v8, s0
	v_add_co_u32_e32 v0, vcc, s10, v0
	v_addc_co_u32_e32 v1, vcc, v1, v8, vcc
	global_load_dword v8, v[0:1], off
	v_mad_u64_u32 v[0:1], s[6:7], s8, v3, v[0:1]
	global_load_dword v39, v35, s[12:13] offset:3276
	v_mov_b32_e32 v9, s0
	v_add_u32_e32 v1, s9, v1
	global_load_dword v3, v[0:1], off
	global_load_dword v37, v35, s[12:13] offset:2340
	global_load_dword v38, v35, s[12:13] offset:936
	v_add_co_u32_e32 v0, vcc, s10, v0
	v_addc_co_u32_e32 v1, vcc, v1, v9, vcc
	global_load_dword v9, v[0:1], off
	v_mov_b32_e32 v10, s0
	v_add_co_u32_e32 v0, vcc, s10, v0
	v_addc_co_u32_e32 v1, vcc, v1, v10, vcc
	global_load_dword v10, v[0:1], off
	global_load_dword v36, v35, s[12:13] offset:3744
	s_load_dwordx4 s[8:11], s[2:3], 0x0
	s_movk_i32 s0, 0x3aee
	s_mov_b32 s6, 0xffff
	v_add_co_u32_e32 v52, vcc, s1, v44
	s_movk_i32 s1, 0xea
	v_add_co_u32_e32 v51, vcc, s1, v44
	s_movk_i32 s1, 0xab
	s_mov_b32 s2, 0xaaab
	s_waitcnt vmcnt(16)
	v_lshrrev_b32_e32 v0, 16, v4
	v_mul_f16_sdwa v1, v45, v4 dst_sel:DWORD dst_unused:UNUSED_PAD src0_sel:WORD_1 src1_sel:DWORD
	v_mul_f16_sdwa v11, v45, v0 dst_sel:DWORD dst_unused:UNUSED_PAD src0_sel:WORD_1 src1_sel:DWORD
	v_fma_f16 v0, v45, v0, -v1
	s_waitcnt vmcnt(15)
	v_lshrrev_b32_e32 v1, 16, v5
	s_waitcnt vmcnt(14)
	v_mul_f16_sdwa v13, v43, v5 dst_sel:DWORD dst_unused:UNUSED_PAD src0_sel:WORD_1 src1_sel:DWORD
	v_fma_f16 v4, v45, v4, v11
	v_mul_f16_sdwa v11, v43, v1 dst_sel:DWORD dst_unused:UNUSED_PAD src0_sel:WORD_1 src1_sel:DWORD
	v_fma_f16 v1, v43, v1, -v13
	s_waitcnt vmcnt(13)
	v_lshrrev_b32_e32 v13, 16, v2
	v_pack_b32_f16 v0, v4, v0
	v_fma_f16 v4, v43, v5, v11
	s_waitcnt vmcnt(12)
	v_mul_f16_sdwa v14, v42, v2 dst_sel:DWORD dst_unused:UNUSED_PAD src0_sel:WORD_1 src1_sel:DWORD
	v_mul_f16_sdwa v5, v42, v13 dst_sel:DWORD dst_unused:UNUSED_PAD src0_sel:WORD_1 src1_sel:DWORD
	v_pack_b32_f16 v1, v4, v1
	v_fma_f16 v2, v42, v2, v5
	ds_write_b32 v35, v1 offset:1404
	v_fma_f16 v1, v42, v13, -v14
	v_pack_b32_f16 v1, v2, v1
	ds_write_b32 v35, v1 offset:2808
	s_waitcnt vmcnt(11)
	v_lshrrev_b32_e32 v1, 16, v6
	s_waitcnt vmcnt(10)
	v_mul_f16_sdwa v2, v41, v1 dst_sel:DWORD dst_unused:UNUSED_PAD src0_sel:WORD_1 src1_sel:DWORD
	v_mul_f16_sdwa v4, v41, v6 dst_sel:DWORD dst_unused:UNUSED_PAD src0_sel:WORD_1 src1_sel:DWORD
	v_fma_f16 v2, v41, v6, v2
	v_fma_f16 v1, v41, v1, -v4
	v_pack_b32_f16 v1, v2, v1
	ds_write2_b32 v35, v0, v1 offset1:117
	s_waitcnt vmcnt(9)
	v_lshrrev_b32_e32 v0, 16, v7
	s_waitcnt vmcnt(8)
	v_mul_f16_sdwa v1, v40, v0 dst_sel:DWORD dst_unused:UNUSED_PAD src0_sel:WORD_1 src1_sel:DWORD
	v_mul_f16_sdwa v2, v40, v7 dst_sel:DWORD dst_unused:UNUSED_PAD src0_sel:WORD_1 src1_sel:DWORD
	v_fma_f16 v1, v40, v7, v1
	v_fma_f16 v0, v40, v0, -v2
	v_pack_b32_f16 v0, v1, v0
	s_waitcnt vmcnt(7)
	v_lshrrev_b32_e32 v1, 16, v8
	s_waitcnt vmcnt(6)
	v_mul_f16_sdwa v2, v39, v1 dst_sel:DWORD dst_unused:UNUSED_PAD src0_sel:WORD_1 src1_sel:DWORD
	v_mul_f16_sdwa v4, v39, v8 dst_sel:DWORD dst_unused:UNUSED_PAD src0_sel:WORD_1 src1_sel:DWORD
	v_fma_f16 v2, v39, v8, v2
	v_fma_f16 v1, v39, v1, -v4
	v_pack_b32_f16 v2, v2, v1
	s_waitcnt vmcnt(5)
	v_lshrrev_b32_e32 v1, 16, v3
	s_waitcnt vmcnt(3)
	v_mul_f16_sdwa v4, v38, v1 dst_sel:DWORD dst_unused:UNUSED_PAD src0_sel:WORD_1 src1_sel:DWORD
	v_fma_f16 v4, v38, v3, v4
	v_mul_f16_sdwa v3, v38, v3 dst_sel:DWORD dst_unused:UNUSED_PAD src0_sel:WORD_1 src1_sel:DWORD
	v_fma_f16 v1, v38, v1, -v3
	v_pack_b32_f16 v1, v4, v1
	ds_write_b32 v35, v1 offset:936
	s_waitcnt vmcnt(2)
	v_lshrrev_b32_e32 v1, 16, v9
	v_mul_f16_sdwa v3, v37, v1 dst_sel:DWORD dst_unused:UNUSED_PAD src0_sel:WORD_1 src1_sel:DWORD
	v_mul_f16_sdwa v4, v37, v9 dst_sel:DWORD dst_unused:UNUSED_PAD src0_sel:WORD_1 src1_sel:DWORD
	v_fma_f16 v3, v37, v9, v3
	v_fma_f16 v1, v37, v1, -v4
	v_pack_b32_f16 v3, v3, v1
	v_add_u32_e32 v1, 0x600, v35
	ds_write2_b32 v1, v0, v3 offset0:84 offset1:201
	s_waitcnt vmcnt(1)
	v_lshrrev_b32_e32 v0, 16, v10
	s_waitcnt vmcnt(0)
	v_mul_f16_sdwa v3, v36, v0 dst_sel:DWORD dst_unused:UNUSED_PAD src0_sel:WORD_1 src1_sel:DWORD
	v_mul_f16_sdwa v4, v36, v10 dst_sel:DWORD dst_unused:UNUSED_PAD src0_sel:WORD_1 src1_sel:DWORD
	v_fma_f16 v3, v36, v10, v3
	v_fma_f16 v0, v36, v0, -v4
	v_pack_b32_f16 v3, v3, v0
	v_add_u32_e32 v0, 0xc00, v35
	v_add_u32_e32 v9, 0xa00, v35
	;; [unrolled: 1-line block ×3, first 2 shown]
	ds_write2_b32 v0, v2, v3 offset0:51 offset1:168
	s_waitcnt lgkmcnt(0)
	s_barrier
	ds_read2_b32 v[2:3], v9 offset0:62 offset1:179
	ds_read2_b32 v[4:5], v10 offset0:106 offset1:223
	ds_read2_b32 v[6:7], v35 offset1:117
	v_mul_lo_u16_e32 v8, 3, v44
	v_lshlrev_b32_e32 v31, 2, v8
	ds_read_b32 v8, v35 offset:3744
	s_waitcnt lgkmcnt(2)
	v_pk_add_f16 v11, v5, v2
	v_pk_add_f16 v13, v5, v2 neg_lo:[0,1] neg_hi:[0,1]
	s_waitcnt lgkmcnt(1)
	v_pk_add_f16 v5, v6, v5
	v_pk_fma_f16 v11, v11, 0.5, v6 op_sel_hi:[1,0,1] neg_lo:[1,0,0] neg_hi:[1,0,0]
	v_pk_add_f16 v2, v5, v2
	ds_read2_b32 v[5:6], v1 offset0:84 offset1:201
	v_pk_mul_f16 v13, v13, s0 op_sel_hi:[1,0]
	v_pk_add_f16 v14, v11, v13 op_sel:[0,1] op_sel_hi:[1,0]
	v_pk_add_f16 v11, v11, v13 op_sel:[0,1] op_sel_hi:[1,0] neg_lo:[0,1] neg_hi:[0,1]
	v_bfi_b32 v13, s6, v14, v11
	s_waitcnt lgkmcnt(0)
	s_barrier
	ds_write2_b32 v31, v2, v13 offset1:1
	v_pk_add_f16 v2, v5, v3
	v_pk_fma_f16 v2, v2, 0.5, v7 op_sel_hi:[1,0,1] neg_lo:[1,0,0] neg_hi:[1,0,0]
	v_pk_add_f16 v7, v7, v5
	v_pk_add_f16 v7, v7, v3
	v_pk_add_f16 v3, v5, v3 neg_lo:[0,1] neg_hi:[0,1]
	v_pk_mul_f16 v3, v3, s0 op_sel_hi:[1,0]
	v_pk_add_f16 v5, v2, v3 op_sel:[0,1] op_sel_hi:[1,0]
	v_pk_add_f16 v2, v2, v3 op_sel:[0,1] op_sel_hi:[1,0] neg_lo:[0,1] neg_hi:[0,1]
	v_bfi_b32 v3, s6, v11, v14
	ds_write_b32 v31, v3 offset:8
	v_mul_u32_u24_e32 v3, 3, v52
	v_lshlrev_b32_e32 v33, 2, v3
	v_bfi_b32 v3, s6, v5, v2
	v_bfi_b32 v2, s6, v2, v5
	ds_write2_b32 v33, v7, v3 offset1:1
	v_pk_add_f16 v3, v6, v8
	ds_write_b32 v33, v2 offset:8
	v_pk_add_f16 v2, v6, v8 neg_lo:[0,1] neg_hi:[0,1]
	v_pk_fma_f16 v3, v3, 0.5, v4 op_sel_hi:[1,0,1] neg_lo:[1,0,0] neg_hi:[1,0,0]
	v_mul_u32_u24_e32 v5, 3, v51
	v_pk_mul_f16 v2, v2, s0 op_sel_hi:[1,0]
	v_lshlrev_b32_e32 v34, 2, v5
	v_pk_add_f16 v5, v3, v2 op_sel:[0,1] op_sel_hi:[1,0]
	v_pk_add_f16 v2, v3, v2 op_sel:[0,1] op_sel_hi:[1,0] neg_lo:[0,1] neg_hi:[0,1]
	v_bfi_b32 v3, s6, v5, v2
	v_bfi_b32 v2, s6, v2, v5
	ds_write_b32 v34, v2 offset:8
	v_mul_lo_u16_sdwa v2, v52, s1 dst_sel:DWORD dst_unused:UNUSED_PAD src0_sel:BYTE_0 src1_sel:DWORD
	v_lshrrev_b16_e32 v11, 9, v2
	v_mul_lo_u16_e32 v2, 3, v11
	v_sub_u16_e32 v2, v52, v2
	v_pk_add_f16 v4, v4, v6
	v_and_b32_e32 v25, 0xff, v2
	v_pk_add_f16 v4, v4, v8
	v_lshlrev_b32_e32 v2, 3, v25
	ds_write2_b32 v34, v4, v3 offset1:1
	s_waitcnt lgkmcnt(0)
	s_barrier
	global_load_dwordx2 v[13:14], v2, s[14:15]
	v_mul_u32_u24_sdwa v2, v51, s2 dst_sel:DWORD dst_unused:UNUSED_PAD src0_sel:WORD_0 src1_sel:DWORD
	v_lshrrev_b32_e32 v26, 17, v2
	v_mul_lo_u16_e32 v2, 3, v26
	v_sub_u16_e32 v27, v51, v2
	v_lshlrev_b16_e32 v2, 1, v27
	v_lshlrev_b32_e32 v2, 2, v2
	global_load_dwordx2 v[15:16], v2, s[14:15]
	v_mul_lo_u16_sdwa v2, v44, s1 dst_sel:DWORD dst_unused:UNUSED_PAD src0_sel:BYTE_0 src1_sel:DWORD
	v_lshrrev_b16_e32 v19, 9, v2
	v_mul_lo_u16_e32 v2, 3, v19
	v_sub_u16_e32 v2, v44, v2
	v_and_b32_e32 v20, 0xff, v2
	v_lshlrev_b32_e32 v2, 3, v20
	global_load_dwordx2 v[17:18], v2, s[14:15]
	ds_read2_b32 v[2:3], v1 offset0:84 offset1:201
	ds_read2_b32 v[4:5], v9 offset0:62 offset1:179
	s_mov_b32 s1, 0xbaee
	v_mul_u32_u24_e32 v19, 9, v19
	v_add_lshl_u32 v48, v19, v20, 2
	s_waitcnt lgkmcnt(1)
	v_lshrrev_b32_e32 v6, 16, v2
	s_waitcnt lgkmcnt(0)
	v_lshrrev_b32_e32 v8, 16, v5
	v_lshrrev_b32_e32 v23, 16, v4
	s_load_dwordx2 s[2:3], s[4:5], 0x38
	s_waitcnt vmcnt(2)
	v_mul_f16_sdwa v7, v2, v13 dst_sel:DWORD dst_unused:UNUSED_PAD src0_sel:DWORD src1_sel:WORD_1
	v_fma_f16 v28, v6, v13, v7
	v_mul_f16_sdwa v6, v6, v13 dst_sel:DWORD dst_unused:UNUSED_PAD src0_sel:DWORD src1_sel:WORD_1
	v_fma_f16 v2, v2, v13, -v6
	v_mul_f16_sdwa v6, v5, v14 dst_sel:DWORD dst_unused:UNUSED_PAD src0_sel:DWORD src1_sel:WORD_1
	v_fma_f16 v29, v8, v14, v6
	ds_read2_b32 v[6:7], v35 offset1:117
	v_mul_f16_sdwa v8, v8, v14 dst_sel:DWORD dst_unused:UNUSED_PAD src0_sel:DWORD src1_sel:WORD_1
	v_fma_f16 v5, v5, v14, -v8
	v_add_f16_e32 v8, v2, v5
	v_sub_f16_e32 v9, v28, v29
	s_waitcnt lgkmcnt(0)
	v_fma_f16 v8, v8, -0.5, v7
	v_fma_f16 v21, v9, s0, v8
	v_fma_f16 v22, v9, s1, v8
	ds_read2_b32 v[8:9], v10 offset0:106 offset1:223
	s_waitcnt vmcnt(0)
	v_mul_f16_sdwa v10, v23, v18 dst_sel:DWORD dst_unused:UNUSED_PAD src0_sel:DWORD src1_sel:WORD_1
	v_fma_f16 v10, v4, v18, -v10
	v_mul_f16_sdwa v4, v4, v18 dst_sel:DWORD dst_unused:UNUSED_PAD src0_sel:DWORD src1_sel:WORD_1
	v_fma_f16 v4, v23, v18, v4
	s_waitcnt lgkmcnt(0)
	v_lshrrev_b32_e32 v23, 16, v9
	v_mul_f16_sdwa v24, v9, v17 dst_sel:DWORD dst_unused:UNUSED_PAD src0_sel:DWORD src1_sel:WORD_1
	v_fma_f16 v24, v23, v17, v24
	v_lshrrev_b32_e32 v30, 16, v6
	v_mul_f16_sdwa v19, v23, v17 dst_sel:DWORD dst_unused:UNUSED_PAD src0_sel:DWORD src1_sel:WORD_1
	v_add_f16_e32 v32, v30, v24
	v_fma_f16 v9, v9, v17, -v19
	v_add_f16_e32 v53, v32, v4
	v_sub_f16_e32 v46, v24, v4
	v_add_f16_e32 v4, v24, v4
	v_add_f16_e32 v20, v9, v10
	v_fma_f16 v4, v4, -0.5, v30
	v_add_f16_e32 v19, v6, v9
	v_sub_f16_e32 v9, v9, v10
	v_fma_f16 v6, v20, -0.5, v6
	v_add_f16_e32 v19, v19, v10
	v_fma_f16 v20, v46, s0, v6
	v_fma_f16 v32, v9, s1, v4
	v_pack_b32_f16 v23, v19, v53
	v_pack_b32_f16 v24, v20, v32
	v_fma_f16 v54, v9, s0, v4
	v_lshrrev_b32_e32 v4, 16, v7
	ds_read_b32 v10, v35 offset:3744
	s_waitcnt lgkmcnt(0)
	s_barrier
	ds_write2_b32 v48, v23, v24 offset1:3
	v_fma_f16 v23, v46, s1, v6
	v_add_f16_e32 v6, v4, v28
	v_add_f16_e32 v7, v7, v2
	;; [unrolled: 1-line block ×5, first 2 shown]
	v_fma_f16 v4, v6, -0.5, v4
	v_sub_f16_e32 v2, v2, v5
	v_pack_b32_f16 v5, v23, v54
	ds_write_b32 v48, v5 offset:24
	v_mul_u32_u24_e32 v5, 9, v11
	v_fma_f16 v56, v2, s1, v4
	v_add_lshl_u32 v49, v5, v25, 2
	v_pack_b32_f16 v5, v24, v55
	v_pack_b32_f16 v6, v21, v56
	ds_write2_b32 v49, v5, v6 offset1:3
	v_lshrrev_b32_e32 v5, 16, v3
	v_mul_f16_sdwa v6, v5, v15 dst_sel:DWORD dst_unused:UNUSED_PAD src0_sel:DWORD src1_sel:WORD_1
	v_fma_f16 v6, v3, v15, -v6
	v_mul_f16_sdwa v3, v3, v15 dst_sel:DWORD dst_unused:UNUSED_PAD src0_sel:DWORD src1_sel:WORD_1
	v_fma_f16 v3, v5, v15, v3
	v_lshrrev_b32_e32 v5, 16, v10
	v_mul_f16_sdwa v7, v5, v16 dst_sel:DWORD dst_unused:UNUSED_PAD src0_sel:DWORD src1_sel:WORD_1
	v_mul_f16_sdwa v9, v10, v16 dst_sel:DWORD dst_unused:UNUSED_PAD src0_sel:DWORD src1_sel:WORD_1
	v_fma_f16 v57, v2, s0, v4
	v_lshrrev_b32_e32 v4, 16, v8
	v_fma_f16 v7, v10, v16, -v7
	v_fma_f16 v5, v5, v16, v9
	v_add_f16_e32 v9, v4, v3
	v_add_f16_e32 v2, v6, v7
	;; [unrolled: 1-line block ×3, first 2 shown]
	v_sub_f16_e32 v9, v3, v5
	v_add_f16_e32 v3, v3, v5
	v_fma_f16 v2, v2, -0.5, v8
	v_add_f16_e32 v8, v8, v6
	v_fma_f16 v3, v3, -0.5, v4
	v_pack_b32_f16 v4, v22, v57
	v_sub_f16_e32 v5, v6, v7
	ds_write_b32 v49, v4 offset:24
	v_mad_legacy_u16 v4, v26, 9, v27
	v_add_f16_e32 v25, v8, v7
	v_fma_f16 v26, v9, s0, v2
	v_fma_f16 v64, v5, s1, v3
	;; [unrolled: 1-line block ×4, first 2 shown]
	s_movk_i32 s0, 0x51
	v_lshlrev_b32_e32 v50, 2, v4
	v_pack_b32_f16 v4, v25, v58
	v_pack_b32_f16 v6, v26, v64
	v_pack_b32_f16 v2, v27, v67
	v_cmp_gt_u16_e32 vcc, s0, v44
	ds_write2_b32 v50, v4, v6 offset1:3
	ds_write_b32 v50, v2 offset:24
	s_waitcnt lgkmcnt(0)
	s_barrier
	s_waitcnt lgkmcnt(0)
                                        ; implicit-def: $vgpr29
	s_and_saveexec_b64 s[0:1], vcc
	s_cbranch_execz .LBB0_3
; %bb.2:
	ds_read2_b32 v[19:20], v35 offset1:81
	ds_read2_b32 v[23:24], v35 offset0:162 offset1:243
	v_add_u32_e32 v2, 0x400, v35
	ds_read2_b32 v[25:26], v1 offset0:102 offset1:183
	v_add_u32_e32 v1, 0x800, v35
	ds_read2_b32 v[21:22], v2 offset0:68 offset1:149
	ds_read2_b32 v[27:28], v1 offset0:136 offset1:217
	;; [unrolled: 1-line block ×3, first 2 shown]
	ds_read_b32 v77, v35 offset:3888
	s_waitcnt lgkmcnt(6)
	v_lshrrev_b32_e32 v53, 16, v19
	v_lshrrev_b32_e32 v32, 16, v20
	s_waitcnt lgkmcnt(5)
	v_lshrrev_b32_e32 v54, 16, v23
	v_lshrrev_b32_e32 v55, 16, v24
	;; [unrolled: 3-line block ×3, first 2 shown]
	v_lshrrev_b32_e32 v58, 16, v25
	v_lshrrev_b32_e32 v64, 16, v26
	s_waitcnt lgkmcnt(2)
	v_lshrrev_b32_e32 v67, 16, v27
	v_lshrrev_b32_e32 v75, 16, v28
	s_waitcnt lgkmcnt(1)
	;; [unrolled: 3-line block ×3, first 2 shown]
	v_lshrrev_b32_e32 v79, 16, v77
.LBB0_3:
	s_or_b64 exec, exec, s[0:1]
	v_mov_b32_e32 v0, 57
	v_mul_lo_u16_sdwa v0, v44, v0 dst_sel:DWORD dst_unused:UNUSED_PAD src0_sel:BYTE_0 src1_sel:DWORD
	v_lshrrev_b16_e32 v46, 9, v0
	v_mul_lo_u16_e32 v0, 9, v46
	v_sub_u16_e32 v0, v44, v0
	v_and_b32_e32 v47, 0xff, v0
	v_mad_u64_u32 v[59:60], s[0:1], v47, 48, s[14:15]
	s_movk_i32 s5, 0x388b
	s_movk_i32 s7, 0x2fb7
	global_load_dwordx4 v[4:7], v[59:60], off offset:24
	global_load_dwordx4 v[0:3], v[59:60], off offset:40
	global_load_dwordx4 v[8:11], v[59:60], off offset:56
	s_mov_b32 s6, 0xb5ac
	s_mov_b32 s16, 0xbbc4
	;; [unrolled: 1-line block ×3, first 2 shown]
	s_movk_i32 s4, 0x3b15
	s_waitcnt vmcnt(0)
	s_barrier
	v_mul_f16_sdwa v59, v20, v4 dst_sel:DWORD dst_unused:UNUSED_PAD src0_sel:DWORD src1_sel:WORD_1
	v_mul_f16_sdwa v63, v55, v6 dst_sel:DWORD dst_unused:UNUSED_PAD src0_sel:DWORD src1_sel:WORD_1
	;; [unrolled: 1-line block ×20, first 2 shown]
	v_fma_f16 v66, v24, v6, -v63
	v_fma_f16 v59, v32, v4, v59
	v_fma_f16 v63, v57, v0, v73
	v_fma_f16 v73, v27, v3, -v83
	v_fma_f16 v27, v67, v3, v84
	v_fma_f16 v67, v79, v11, v92
	v_mul_f16_sdwa v71, v21, v7 dst_sel:DWORD dst_unused:UNUSED_PAD src0_sel:DWORD src1_sel:WORD_1
	v_mul_f16_sdwa v74, v58, v1 dst_sel:DWORD dst_unused:UNUSED_PAD src0_sel:DWORD src1_sel:WORD_1
	;; [unrolled: 1-line block ×3, first 2 shown]
	v_fma_f16 v65, v23, v5, -v60
	v_fma_f16 v60, v54, v5, v61
	v_fma_f16 v61, v55, v6, v68
	v_fma_f16 v70, v20, v4, -v62
	v_fma_f16 v68, v21, v7, -v69
	v_fma_f16 v69, v22, v0, -v72
	v_fma_f16 v72, v26, v2, -v81
	v_fma_f16 v26, v64, v2, v82
	v_fma_f16 v64, v75, v8, v86
	v_fma_f16 v75, v29, v9, -v87
	v_fma_f16 v29, v76, v9, v88
	v_fma_f16 v76, v30, v10, -v89
	;; [unrolled: 2-line block ×3, first 2 shown]
	v_sub_f16_e32 v82, v59, v67
	v_fma_f16 v62, v56, v7, v71
	v_fma_f16 v71, v25, v1, -v74
	v_fma_f16 v74, v28, v8, -v85
	v_add_f16_e32 v20, v70, v77
	v_sub_f16_e32 v81, v60, v30
	v_mul_f16_e32 v85, 0xba95, v82
	v_add_f16_e32 v21, v65, v76
	v_sub_f16_e32 v84, v61, v29
	v_mul_f16_e32 v92, 0xbbf1, v82
	v_mul_f16_e32 v86, 0xbb7b, v81
	v_fma_f16 v23, v20, s5, v85
	v_add_f16_e32 v22, v66, v75
	v_sub_f16_e32 v89, v62, v64
	v_mul_f16_e32 v93, 0xb3a8, v81
	v_mul_f16_e32 v87, 0xb3a8, v84
	v_fma_f16 v24, v20, s7, v92
	v_fma_f16 v32, v21, s6, v86
	v_add_f16_e32 v23, v19, v23
	v_mul_f16_sdwa v80, v25, v1 dst_sel:DWORD dst_unused:UNUSED_PAD src0_sel:DWORD src1_sel:WORD_1
	v_add_f16_e32 v28, v68, v74
	v_sub_f16_e32 v103, v63, v27
	v_mul_f16_e32 v94, 0x3b7b, v84
	v_mul_f16_e32 v88, 0x394e, v89
	v_fma_f16 v54, v21, s16, v93
	v_fma_f16 v55, v22, s16, v87
	v_add_f16_e32 v24, v19, v24
	v_add_f16_e32 v23, v32, v23
	v_fma_f16 v25, v58, v1, v80
	v_add_f16_e32 v78, v69, v73
	v_mul_f16_e32 v95, 0x3770, v89
	v_fma_f16 v56, v22, s6, v94
	v_fma_f16 v57, v28, s17, v88
	v_add_f16_e32 v24, v54, v24
	v_add_f16_e32 v23, v55, v23
	v_mul_f16_e32 v90, 0x3bf1, v103
	v_fma_f16 v58, v28, s4, v95
	v_add_f16_e32 v24, v56, v24
	v_add_f16_e32 v23, v57, v23
	v_fma_f16 v32, v78, s7, v90
	v_mul_f16_e32 v100, 0xba95, v103
	v_sub_f16_e32 v112, v25, v26
	v_add_f16_e32 v24, v58, v24
	v_add_f16_e32 v23, v32, v23
	v_fma_f16 v32, v78, s5, v100
	v_add_f16_e32 v79, v71, v72
	v_mul_f16_e32 v99, 0x3770, v112
	v_add_f16_e32 v32, v32, v24
	v_fma_f16 v24, v79, s4, v99
	v_mul_f16_e32 v106, 0xb94e, v112
	v_add_f16_e32 v24, v24, v23
	v_fma_f16 v23, v79, s17, v106
	;; [unrolled: 3-line block ×3, first 2 shown]
	v_mul_f16_e32 v98, 0xba95, v81
	v_sub_f16_e32 v130, v70, v77
	v_add_f16_e32 v32, v19, v32
	v_fma_f16 v54, v21, s5, v98
	v_add_f16_e32 v80, v59, v67
	v_mul_f16_e32 v102, 0xb770, v130
	v_sub_f16_e32 v131, v65, v76
	v_add_f16_e32 v32, v54, v32
	v_fma_f16 v54, v80, s4, -v102
	v_add_f16_e32 v83, v60, v30
	v_mul_f16_e32 v104, 0xba95, v131
	v_add_f16_e32 v54, v53, v54
	v_fma_f16 v55, v83, s5, -v104
	v_mul_f16_e32 v108, 0xba95, v130
	v_add_f16_e32 v54, v55, v54
	v_fma_f16 v55, v80, s5, -v108
	;; [unrolled: 3-line block ×5, first 2 shown]
	v_mul_f16_e32 v121, 0xbb7b, v82
	v_add_f16_e32 v56, v57, v56
	v_fma_f16 v57, v20, s6, v121
	v_mul_f16_e32 v122, 0x394e, v81
	v_add_f16_e32 v57, v19, v57
	v_fma_f16 v58, v21, s17, v122
	v_mul_f16_e32 v126, 0xbb7b, v130
	v_add_f16_e32 v57, v58, v57
	v_fma_f16 v58, v80, s6, -v126
	v_mul_f16_e32 v127, 0x394e, v131
	v_add_f16_e32 v58, v53, v58
	v_fma_f16 v91, v83, s17, -v127
	v_mul_f16_e32 v107, 0xbbf1, v84
	v_add_f16_e32 v58, v91, v58
	v_fma_f16 v91, v22, s7, v107
	v_sub_f16_e32 v137, v66, v75
	v_add_f16_e32 v32, v91, v32
	v_add_f16_e32 v91, v61, v29
	v_mul_f16_e32 v110, 0xbbf1, v137
	v_fma_f16 v96, v91, s7, -v110
	v_mul_f16_e32 v115, 0xb3a8, v137
	v_add_f16_e32 v54, v96, v54
	v_fma_f16 v96, v91, s16, -v115
	v_mul_f16_e32 v123, 0x3b7b, v137
	v_add_f16_e32 v55, v96, v55
	v_fma_f16 v96, v91, s6, -v123
	v_mul_f16_e32 v128, 0x3770, v84
	v_add_f16_e32 v56, v96, v56
	v_fma_f16 v96, v22, s4, v128
	v_mul_f16_e32 v133, 0x3770, v137
	v_add_f16_e32 v57, v96, v57
	v_fma_f16 v96, v91, s4, -v133
	v_mul_f16_e32 v111, 0xbb7b, v89
	v_add_f16_e32 v58, v96, v58
	v_fma_f16 v96, v28, s6, v111
	v_sub_f16_e32 v141, v68, v74
	v_add_f16_e32 v32, v96, v32
	v_add_f16_e32 v96, v62, v64
	v_mul_f16_e32 v113, 0xbb7b, v141
	v_fma_f16 v101, v96, s6, -v113
	v_mul_f16_e32 v120, 0x394e, v141
	v_add_f16_e32 v54, v101, v54
	v_fma_f16 v101, v96, s17, -v120
	v_mul_f16_e32 v129, 0x3770, v141
	v_add_f16_e32 v55, v101, v55
	v_fma_f16 v101, v96, s4, -v129
	v_mul_f16_e32 v134, 0xbbf1, v89
	v_add_f16_e32 v56, v101, v56
	v_fma_f16 v101, v28, s7, v134
	;; [unrolled: 20-line block ×3, first 2 shown]
	v_mul_f16_e32 v140, 0x33a8, v144
	v_add_f16_e32 v146, v56, v57
	v_fma_f16 v56, v101, s16, -v140
	v_mul_f16_e32 v119, 0xb3a8, v112
	v_sub_f16_e32 v145, v71, v72
	v_add_f16_e32 v147, v56, v58
	v_fma_f16 v56, v79, s16, v119
	v_add_f16_e32 v105, v25, v26
	v_mul_f16_e32 v124, 0xb3a8, v145
	v_add_f16_e32 v57, v56, v32
	v_fma_f16 v32, v105, s16, -v124
	v_mul_f16_e32 v132, 0x3770, v145
	v_add_f16_e32 v58, v32, v54
	v_fma_f16 v32, v105, s4, -v132
	;; [unrolled: 3-line block ×4, first 2 shown]
	v_mul_f16_e32 v142, 0x3a95, v112
	v_add_f16_e32 v54, v32, v147
	v_fma_f16 v32, v79, s5, v142
	v_add_f16_e32 v32, v32, v146
	s_and_saveexec_b64 s[0:1], vcc
	s_cbranch_execz .LBB0_5
; %bb.4:
	v_mul_f16_e32 v194, 0xb3a8, v130
	v_fma_f16 v195, v80, s16, v194
	v_mul_f16_e32 v196, 0x3770, v131
	v_add_f16_e32 v195, v53, v195
	v_fma_f16 v197, v83, s4, v196
	v_add_f16_e32 v195, v197, v195
	v_mul_f16_e32 v197, 0xb94e, v137
	v_fma_f16 v198, v91, s17, v197
	v_add_f16_e32 v195, v198, v195
	v_mul_f16_e32 v198, 0x3a95, v141
	;; [unrolled: 3-line block ×5, first 2 shown]
	v_fma_f16 v202, v20, s16, -v201
	v_mul_f16_e32 v203, 0x3770, v81
	v_add_f16_e32 v202, v19, v202
	v_fma_f16 v204, v21, s4, -v203
	v_add_f16_e32 v202, v204, v202
	v_mul_f16_e32 v204, 0xb94e, v84
	v_add_f16_e32 v59, v53, v59
	v_mul_f16_e32 v148, 0x388b, v20
	v_fma_f16 v205, v22, s17, -v204
	v_add_f16_e32 v59, v59, v60
	v_mul_f16_e32 v156, 0xb5ac, v21
	v_add_f16_e32 v202, v205, v202
	v_mul_f16_e32 v205, 0x3a95, v89
	v_sub_f16_e32 v85, v148, v85
	v_add_f16_e32 v59, v59, v61
	v_mul_f16_e32 v164, 0xbbc4, v22
	v_fma_f16 v206, v28, s5, -v205
	v_add_f16_e32 v85, v19, v85
	v_sub_f16_e32 v86, v156, v86
	v_add_f16_e32 v59, v59, v62
	v_mul_f16_e32 v172, 0xb9fd, v28
	v_add_f16_e32 v202, v206, v202
	v_mul_f16_e32 v206, 0xbb7b, v103
	v_add_f16_e32 v85, v86, v85
	v_sub_f16_e32 v86, v164, v87
	v_add_f16_e32 v59, v59, v63
	v_mul_f16_e32 v180, 0x2fb7, v78
	v_fma_f16 v207, v78, s6, -v206
	v_add_f16_e32 v85, v86, v85
	v_sub_f16_e32 v86, v172, v88
	v_add_f16_e32 v25, v59, v25
	v_mul_f16_e32 v188, 0x3b15, v79
	v_add_f16_e32 v202, v207, v202
	v_mul_f16_e32 v207, 0x3bf1, v112
	v_add_f16_e32 v85, v86, v85
	v_sub_f16_e32 v86, v180, v90
	v_add_f16_e32 v25, v25, v26
	v_fma_f16 v26, v80, s16, -v194
	v_mul_f16_e32 v147, 0x3b15, v80
	v_fma_f16 v208, v79, s7, -v207
	v_mul_f16_e32 v130, 0xb94e, v130
	v_add_f16_e32 v85, v86, v85
	v_sub_f16_e32 v86, v188, v99
	v_add_f16_e32 v25, v25, v27
	v_add_f16_e32 v26, v53, v26
	v_fma_f16 v27, v83, s4, -v196
	v_mul_f16_e32 v150, 0x2fb7, v20
	v_mul_f16_e32 v155, 0x388b, v83
	v_add_f16_e32 v202, v208, v202
	v_fma_f16 v208, v80, s17, v130
	v_mul_f16_e32 v131, 0x3bf1, v131
	v_add_f16_e32 v85, v86, v85
	v_add_f16_e32 v86, v102, v147
	;; [unrolled: 1-line block ×3, first 2 shown]
	v_fma_f16 v27, v91, s17, -v197
	v_mul_f16_e32 v158, 0xbbc4, v21
	v_mul_f16_e32 v163, 0x2fb7, v91
	v_add_f16_e32 v208, v53, v208
	v_fma_f16 v209, v83, s7, v131
	v_mul_f16_e32 v137, 0xba95, v137
	v_sub_f16_e32 v92, v150, v92
	v_add_f16_e32 v86, v53, v86
	v_add_f16_e32 v87, v104, v155
	v_add_f16_e32 v70, v19, v70
	v_add_f16_e32 v26, v27, v26
	v_fma_f16 v27, v96, s5, -v198
	v_mul_f16_e32 v166, 0xb5ac, v22
	v_mul_f16_e32 v171, 0xb5ac, v96
	v_add_f16_e32 v208, v209, v208
	v_fma_f16 v209, v91, s5, v137
	v_mul_f16_e32 v141, 0x33a8, v141
	v_add_f16_e32 v92, v19, v92
	v_sub_f16_e32 v93, v158, v93
	v_add_f16_e32 v86, v87, v86
	v_add_f16_e32 v87, v110, v163
	v_add_f16_e32 v65, v70, v65
	v_add_f16_e32 v26, v27, v26
	v_fma_f16 v27, v101, s6, -v199
	v_mul_f16_e32 v174, 0x3b15, v28
	v_mul_f16_e32 v179, 0xb9fd, v101
	v_add_f16_e32 v208, v209, v208
	v_fma_f16 v209, v96, s16, v141
	v_mul_f16_e32 v144, 0x3770, v144
	v_add_f16_e32 v92, v93, v92
	;; [unrolled: 12-line block ×3, first 2 shown]
	v_sub_f16_e32 v93, v174, v95
	v_add_f16_e32 v86, v87, v86
	v_add_f16_e32 v87, v118, v179
	;; [unrolled: 1-line block ×5, first 2 shown]
	v_fma_f16 v27, v20, s16, v201
	v_mul_f16_e32 v146, 0x3b15, v20
	v_mul_f16_e32 v152, 0xb5ac, v20
	;; [unrolled: 1-line block ×3, first 2 shown]
	v_add_f16_e32 v208, v209, v208
	v_fma_f16 v209, v105, s6, v145
	v_mul_f16_e32 v82, 0xb94e, v82
	v_add_f16_e32 v92, v93, v92
	v_sub_f16_e32 v93, v182, v100
	v_add_f16_e32 v86, v87, v86
	v_add_f16_e32 v87, v124, v187
	;; [unrolled: 1-line block ×5, first 2 shown]
	v_fma_f16 v29, v21, s4, v203
	v_mul_f16_e32 v149, 0x388b, v80
	v_mul_f16_e32 v151, 0x2fb7, v80
	;; [unrolled: 1-line block ×3, first 2 shown]
	v_add_f16_e32 v208, v209, v208
	v_fma_f16 v209, v20, s17, -v82
	v_mul_f16_e32 v81, 0x3bf1, v81
	v_sub_f16_e32 v121, v152, v121
	v_add_f16_e32 v92, v93, v92
	v_sub_f16_e32 v93, v190, v106
	v_add_f16_e32 v86, v87, v86
	;; [unrolled: 2-line block ×3, first 2 shown]
	v_add_f16_e32 v27, v29, v27
	v_fma_f16 v29, v22, s17, v204
	v_fma_f16 v20, v20, s17, v82
	v_mul_f16_e32 v153, 0xb5ac, v80
	v_mul_f16_e32 v157, 0xb5ac, v83
	;; [unrolled: 1-line block ×4, first 2 shown]
	v_add_f16_e32 v209, v19, v209
	v_mul_f16_e32 v84, 0xba95, v84
	v_add_f16_e32 v121, v19, v121
	v_add_f16_e32 v116, v116, v151
	;; [unrolled: 1-line block ×5, first 2 shown]
	v_sub_f16_e32 v88, v154, v98
	v_add_f16_e32 v65, v65, v72
	v_add_f16_e32 v27, v29, v27
	v_fma_f16 v29, v28, s5, v205
	v_add_f16_e32 v19, v19, v20
	v_fma_f16 v20, v21, s7, v81
	v_mul_f16_e32 v160, 0xb9fd, v21
	v_mul_f16_e32 v161, 0xb9fd, v83
	;; [unrolled: 1-line block ×6, first 2 shown]
	v_add_f16_e32 v126, v126, v153
	v_add_f16_e32 v116, v53, v116
	;; [unrolled: 1-line block ×6, first 2 shown]
	v_sub_f16_e32 v88, v162, v107
	v_add_f16_e32 v65, v65, v73
	v_add_f16_e32 v27, v29, v27
	v_fma_f16 v29, v78, s6, v206
	v_add_f16_e32 v19, v20, v19
	v_fma_f16 v20, v22, s5, v84
	v_mul_f16_e32 v168, 0x3b15, v22
	v_mul_f16_e32 v169, 0x3b15, v91
	;; [unrolled: 1-line block ×5, first 2 shown]
	v_fma_f16 v210, v21, s7, -v81
	v_mul_f16_e32 v103, 0x3770, v103
	v_add_f16_e32 v126, v53, v126
	v_add_f16_e32 v127, v127, v161
	v_sub_f16_e32 v122, v160, v122
	v_add_f16_e32 v116, v117, v116
	v_add_f16_e32 v117, v123, v167
	;; [unrolled: 1-line block ×5, first 2 shown]
	v_sub_f16_e32 v88, v170, v111
	v_add_f16_e32 v65, v65, v74
	v_add_f16_e32 v27, v29, v27
	v_fma_f16 v29, v79, s7, v207
	v_add_f16_e32 v19, v20, v19
	v_fma_f16 v20, v28, s16, v89
	v_mul_f16_e32 v176, 0x2fb7, v28
	v_mul_f16_e32 v177, 0x2fb7, v96
	;; [unrolled: 1-line block ×5, first 2 shown]
	v_add_f16_e32 v209, v210, v209
	v_fma_f16 v210, v22, s5, -v84
	v_mul_f16_e32 v112, 0xbb7b, v112
	v_add_f16_e32 v126, v127, v126
	v_add_f16_e32 v127, v133, v169
	v_add_f16_e32 v121, v122, v121
	v_sub_f16_e32 v122, v168, v128
	v_add_f16_e32 v116, v117, v116
	v_add_f16_e32 v117, v129, v175
	;; [unrolled: 1-line block ×5, first 2 shown]
	v_sub_f16_e32 v88, v178, v114
	v_add_f16_e32 v65, v65, v75
	v_add_f16_e32 v27, v29, v27
	v_fma_f16 v29, v80, s17, -v130
	v_add_f16_e32 v19, v20, v19
	v_fma_f16 v20, v78, s4, v103
	v_mul_f16_e32 v184, 0xbbc4, v78
	v_mul_f16_e32 v185, 0xbbc4, v101
	v_mul_f16_e32 v189, 0x3b15, v105
	v_mul_f16_e32 v191, 0xb9fd, v105
	v_add_f16_e32 v209, v210, v209
	v_fma_f16 v210, v28, s16, -v89
	v_add_f16_e32 v126, v127, v126
	v_add_f16_e32 v127, v136, v177
	;; [unrolled: 1-line block ×3, first 2 shown]
	v_sub_f16_e32 v122, v176, v134
	v_add_f16_e32 v116, v117, v116
	v_add_f16_e32 v117, v135, v183
	;; [unrolled: 1-line block ×5, first 2 shown]
	v_sub_f16_e32 v88, v186, v119
	v_add_f16_e32 v65, v65, v76
	v_add_f16_e32 v25, v25, v30
	v_add_f16_e32 v29, v53, v29
	v_fma_f16 v30, v83, s7, -v131
	v_add_f16_e32 v19, v20, v19
	v_fma_f16 v20, v79, s6, v112
	v_mul_f16_e32 v192, 0x388b, v79
	v_mul_f16_e32 v193, 0x388b, v105
	v_add_f16_e32 v209, v210, v209
	v_fma_f16 v210, v78, s4, -v103
	v_add_f16_e32 v126, v127, v126
	v_add_f16_e32 v127, v140, v185
	;; [unrolled: 1-line block ×3, first 2 shown]
	v_sub_f16_e32 v122, v184, v138
	v_add_f16_e32 v116, v117, v116
	v_add_f16_e32 v117, v139, v191
	;; [unrolled: 1-line block ×8, first 2 shown]
	v_fma_f16 v30, v91, s5, -v137
	v_add_f16_e32 v19, v20, v19
	v_mul_u32_u24_e32 v20, 0x75, v46
	v_add_f16_e32 v209, v210, v209
	v_fma_f16 v210, v79, s6, -v112
	v_add_f16_e32 v126, v127, v126
	v_add_f16_e32 v127, v143, v193
	;; [unrolled: 1-line block ×3, first 2 shown]
	v_sub_f16_e32 v122, v192, v142
	v_add_f16_e32 v116, v117, v116
	v_add_f16_e32 v93, v94, v93
	;; [unrolled: 1-line block ×3, first 2 shown]
	v_fma_f16 v30, v96, s16, -v141
	v_add_lshl_u32 v20, v20, v47, 2
	v_pack_b32_f16 v21, v65, v25
	v_pack_b32_f16 v22, v87, v86
	v_add_f16_e32 v209, v210, v209
	v_add_f16_e32 v126, v127, v126
	;; [unrolled: 1-line block ×4, first 2 shown]
	v_fma_f16 v30, v101, s4, -v144
	ds_write2_b32 v20, v21, v22 offset1:9
	v_pack_b32_f16 v21, v85, v93
	v_pack_b32_f16 v22, v92, v116
	v_add_f16_e32 v29, v30, v29
	v_fma_f16 v30, v105, s6, -v145
	ds_write2_b32 v20, v21, v22 offset0:18 offset1:27
	v_pack_b32_f16 v21, v121, v126
	v_pack_b32_f16 v22, v209, v208
	v_add_f16_e32 v29, v30, v29
	ds_write2_b32 v20, v21, v22 offset0:36 offset1:45
	v_pack_b32_f16 v21, v202, v195
	v_pack_b32_f16 v22, v27, v26
	s_mov_b32 s4, 0x5040100
	ds_write2_b32 v20, v21, v22 offset0:54 offset1:63
	v_pack_b32_f16 v19, v19, v29
	v_perm_b32 v21, v54, v32, s4
	ds_write2_b32 v20, v19, v21 offset0:72 offset1:81
	v_perm_b32 v19, v55, v23, s4
	v_perm_b32 v21, v56, v24, s4
	ds_write2_b32 v20, v19, v21 offset0:90 offset1:99
	v_perm_b32 v19, v58, v57, s4
	ds_write_b32 v20, v19 offset:432
.LBB0_5:
	s_or_b64 exec, exec, s[0:1]
	s_mov_b32 s0, 0x8c09
	v_mul_u32_u24_sdwa v21, v51, s0 dst_sel:DWORD dst_unused:UNUSED_PAD src0_sel:WORD_0 src1_sel:DWORD
	v_lshrrev_b32_e32 v21, 22, v21
	v_lshlrev_b32_e32 v62, 3, v44
	v_mul_lo_u16_e32 v21, 0x75, v21
	s_waitcnt lgkmcnt(0)
	s_barrier
	global_load_dwordx2 v[19:20], v62, s[14:15] offset:456
	v_sub_u16_e32 v53, v51, v21
	v_lshlrev_b16_e32 v21, 3, v53
	v_mov_b32_e32 v22, s15
	v_add_co_u32_e64 v21, s[0:1], s14, v21
	v_addc_co_u32_e64 v22, s[0:1], 0, v22, s[0:1]
	global_load_dwordx2 v[21:22], v[21:22], off offset:456
	v_add_u32_e32 v68, 0x200, v35
	ds_read2_b32 v[25:26], v35 offset1:117
	v_add_u32_e32 v69, 0xa00, v35
	v_add_u32_e32 v59, 0x600, v35
	ds_read_b32 v63, v35 offset:3744
	ds_read2_b32 v[27:28], v68 offset0:106 offset1:223
	ds_read2_b32 v[29:30], v69 offset0:62 offset1:179
	;; [unrolled: 1-line block ×3, first 2 shown]
	s_waitcnt lgkmcnt(4)
	v_lshrrev_b32_e32 v65, 16, v26
	s_movk_i32 s4, 0x3aee
	s_waitcnt lgkmcnt(2)
	v_lshrrev_b32_e32 v67, 16, v28
	s_waitcnt lgkmcnt(1)
	v_lshrrev_b32_e32 v70, 16, v29
	;; [unrolled: 2-line block ×3, first 2 shown]
	v_lshrrev_b32_e32 v72, 16, v30
	s_mov_b32 s5, 0xbaee
	v_lshrrev_b32_e32 v64, 16, v25
	v_lshrrev_b32_e32 v66, 16, v63
	;; [unrolled: 1-line block ×4, first 2 shown]
	s_waitcnt vmcnt(0)
	s_barrier
	v_lshlrev_b32_e32 v53, 2, v53
	v_mul_f16_sdwa v75, v67, v19 dst_sel:DWORD dst_unused:UNUSED_PAD src0_sel:DWORD src1_sel:WORD_1
	v_mul_f16_sdwa v77, v70, v20 dst_sel:DWORD dst_unused:UNUSED_PAD src0_sel:DWORD src1_sel:WORD_1
	;; [unrolled: 1-line block ×8, first 2 shown]
	v_fma_f16 v28, v28, v19, -v75
	v_fma_f16 v29, v29, v20, -v77
	v_fma_f16 v71, v71, v19, v80
	v_fma_f16 v72, v72, v20, v82
	;; [unrolled: 1-line block ×4, first 2 shown]
	v_fma_f16 v60, v60, v19, -v79
	v_fma_f16 v30, v30, v20, -v81
	v_add_f16_e32 v76, v28, v29
	v_sub_f16_e32 v81, v71, v72
	v_add_f16_e32 v82, v65, v71
	v_add_f16_e32 v71, v71, v72
	;; [unrolled: 1-line block ×3, first 2 shown]
	v_sub_f16_e32 v77, v67, v70
	v_add_f16_e32 v79, v26, v60
	v_add_f16_e32 v80, v60, v30
	v_sub_f16_e32 v60, v60, v30
	v_fma_f16 v25, v76, -0.5, v25
	v_fma_f16 v65, v71, -0.5, v65
	v_add_f16_e32 v78, v64, v67
	v_sub_f16_e32 v28, v28, v29
	v_add_f16_e32 v29, v75, v29
	v_fma_f16 v71, v77, s4, v25
	v_fma_f16 v25, v77, s5, v25
	;; [unrolled: 1-line block ×4, first 2 shown]
	v_mul_f16_sdwa v65, v74, v21 dst_sel:DWORD dst_unused:UNUSED_PAD src0_sel:DWORD src1_sel:WORD_1
	v_mul_f16_sdwa v77, v66, v22 dst_sel:DWORD dst_unused:UNUSED_PAD src0_sel:DWORD src1_sel:WORD_1
	v_add_f16_e32 v67, v67, v70
	v_add_f16_e32 v70, v78, v70
	v_mul_f16_sdwa v76, v61, v21 dst_sel:DWORD dst_unused:UNUSED_PAD src0_sel:DWORD src1_sel:WORD_1
	v_mul_f16_sdwa v78, v63, v22 dst_sel:DWORD dst_unused:UNUSED_PAD src0_sel:DWORD src1_sel:WORD_1
	v_fma_f16 v61, v61, v21, -v65
	v_fma_f16 v63, v63, v22, -v77
	v_fma_f16 v65, v74, v21, v76
	v_fma_f16 v66, v66, v22, v78
	v_add_f16_e32 v76, v61, v63
	v_add_f16_e32 v74, v27, v61
	v_fma_f16 v27, v76, -0.5, v27
	v_sub_f16_e32 v76, v65, v66
	v_fma_f16 v64, v67, -0.5, v64
	v_fma_f16 v77, v76, s4, v27
	v_fma_f16 v27, v76, s5, v27
	v_add_f16_e32 v76, v73, v65
	v_add_f16_e32 v65, v65, v66
	;; [unrolled: 1-line block ×3, first 2 shown]
	v_fma_f16 v26, v80, -0.5, v26
	v_add_f16_e32 v67, v82, v72
	v_fma_f16 v72, v28, s5, v64
	v_fma_f16 v28, v28, s4, v64
	v_fma_f16 v65, v65, -0.5, v73
	v_sub_f16_e32 v61, v61, v63
	v_fma_f16 v64, v81, s4, v26
	v_fma_f16 v26, v81, s5, v26
	v_add_f16_e32 v74, v74, v63
	v_fma_f16 v63, v61, s5, v65
	v_fma_f16 v61, v61, s4, v65
	v_pack_b32_f16 v29, v29, v70
	v_pack_b32_f16 v65, v71, v72
	;; [unrolled: 1-line block ×4, first 2 shown]
	v_add_f16_e32 v76, v76, v66
	ds_write2_b32 v35, v29, v65 offset1:117
	ds_write2_b32 v68, v25, v28 offset0:106 offset1:223
	v_pack_b32_f16 v25, v64, v75
	v_pack_b32_f16 v26, v26, v60
	ds_write2_b32 v59, v25, v26 offset0:84 offset1:201
	v_pack_b32_f16 v25, v74, v76
	v_pack_b32_f16 v26, v77, v63
	v_add_u32_e32 v28, 0xa00, v53
	ds_write2_b32 v28, v25, v26 offset0:62 offset1:179
	v_pack_b32_f16 v25, v27, v61
	ds_write_b32 v53, v25 offset:3744
	s_waitcnt lgkmcnt(0)
	s_barrier
	global_load_dwordx2 v[25:26], v62, s[14:15] offset:1392
	v_lshlrev_b32_e32 v27, 3, v52
	global_load_dwordx2 v[27:28], v27, s[14:15] offset:1392
	v_lshlrev_b32_e32 v29, 3, v51
	;; [unrolled: 2-line block ×3, first 2 shown]
	v_mov_b32_e32 v52, s13
	v_add_co_u32_e64 v66, s[0:1], s12, v51
	v_addc_co_u32_e64 v67, s[0:1], 0, v52, s[0:1]
	ds_read2_b32 v[51:52], v35 offset1:117
	ds_read2_b32 v[60:61], v68 offset0:106 offset1:223
	ds_read2_b32 v[62:63], v69 offset0:62 offset1:179
	;; [unrolled: 1-line block ×3, first 2 shown]
	ds_read_b32 v70, v35 offset:3744
	s_waitcnt lgkmcnt(4)
	v_lshrrev_b32_e32 v71, 16, v51
	s_waitcnt lgkmcnt(3)
	v_lshrrev_b32_e32 v72, 16, v61
	;; [unrolled: 2-line block ×4, first 2 shown]
	v_lshrrev_b32_e32 v76, 16, v63
	v_lshrrev_b32_e32 v78, 16, v65
	s_waitcnt lgkmcnt(0)
	v_lshrrev_b32_e32 v79, 16, v70
	v_lshrrev_b32_e32 v74, 16, v52
	;; [unrolled: 1-line block ×3, first 2 shown]
	s_movk_i32 s0, 0x1000
	s_waitcnt vmcnt(2)
	v_mul_f16_sdwa v80, v72, v25 dst_sel:DWORD dst_unused:UNUSED_PAD src0_sel:DWORD src1_sel:WORD_1
	v_mul_f16_sdwa v82, v73, v26 dst_sel:DWORD dst_unused:UNUSED_PAD src0_sel:DWORD src1_sel:WORD_1
	;; [unrolled: 1-line block ×4, first 2 shown]
	v_fma_f16 v61, v61, v25, -v80
	v_fma_f16 v62, v62, v26, -v82
	v_fma_f16 v72, v72, v25, v81
	v_fma_f16 v73, v73, v26, v83
	v_add_f16_e32 v81, v61, v62
	s_waitcnt vmcnt(1)
	v_mul_f16_sdwa v84, v75, v27 dst_sel:DWORD dst_unused:UNUSED_PAD src0_sel:DWORD src1_sel:WORD_1
	v_mul_f16_sdwa v86, v76, v28 dst_sel:DWORD dst_unused:UNUSED_PAD src0_sel:DWORD src1_sel:WORD_1
	v_add_f16_e32 v80, v51, v61
	v_fma_f16 v51, v81, -0.5, v51
	v_sub_f16_e32 v81, v72, v73
	v_mul_f16_sdwa v85, v64, v27 dst_sel:DWORD dst_unused:UNUSED_PAD src0_sel:DWORD src1_sel:WORD_1
	v_mul_f16_sdwa v87, v63, v28 dst_sel:DWORD dst_unused:UNUSED_PAD src0_sel:DWORD src1_sel:WORD_1
	v_fma_f16 v64, v64, v27, -v84
	v_fma_f16 v63, v63, v28, -v86
	v_fma_f16 v82, v81, s4, v51
	v_fma_f16 v51, v81, s5, v51
	v_add_f16_e32 v81, v71, v72
	v_add_f16_e32 v72, v72, v73
	v_fma_f16 v75, v75, v27, v85
	v_fma_f16 v76, v76, v28, v87
	v_fma_f16 v71, v72, -0.5, v71
	v_sub_f16_e32 v61, v61, v62
	v_add_f16_e32 v72, v64, v63
	s_waitcnt vmcnt(0)
	v_mul_f16_sdwa v88, v78, v29 dst_sel:DWORD dst_unused:UNUSED_PAD src0_sel:DWORD src1_sel:WORD_1
	v_mul_f16_sdwa v90, v79, v30 dst_sel:DWORD dst_unused:UNUSED_PAD src0_sel:DWORD src1_sel:WORD_1
	v_add_f16_e32 v80, v80, v62
	v_fma_f16 v62, v61, s5, v71
	v_fma_f16 v61, v61, s4, v71
	v_add_f16_e32 v71, v52, v64
	v_fma_f16 v52, v72, -0.5, v52
	v_sub_f16_e32 v72, v75, v76
	v_mul_f16_sdwa v89, v65, v29 dst_sel:DWORD dst_unused:UNUSED_PAD src0_sel:DWORD src1_sel:WORD_1
	v_mul_f16_sdwa v91, v70, v30 dst_sel:DWORD dst_unused:UNUSED_PAD src0_sel:DWORD src1_sel:WORD_1
	v_fma_f16 v65, v65, v29, -v88
	v_fma_f16 v70, v70, v30, -v90
	v_add_f16_e32 v81, v81, v73
	v_fma_f16 v73, v72, s4, v52
	v_fma_f16 v52, v72, s5, v52
	v_add_f16_e32 v72, v74, v75
	v_add_f16_e32 v75, v75, v76
	v_fma_f16 v78, v78, v29, v89
	v_fma_f16 v79, v79, v30, v91
	v_add_f16_e32 v71, v71, v63
	v_fma_f16 v74, v75, -0.5, v74
	v_sub_f16_e32 v63, v64, v63
	v_add_f16_e32 v75, v65, v70
	v_fma_f16 v64, v63, s5, v74
	v_fma_f16 v63, v63, s4, v74
	v_add_f16_e32 v74, v60, v65
	v_fma_f16 v60, v75, -0.5, v60
	v_sub_f16_e32 v75, v78, v79
	v_add_f16_e32 v72, v72, v76
	v_fma_f16 v76, v75, s4, v60
	v_fma_f16 v60, v75, s5, v60
	v_add_f16_e32 v75, v77, v78
	v_add_f16_e32 v78, v78, v79
	;; [unrolled: 1-line block ×4, first 2 shown]
	v_fma_f16 v77, v78, -0.5, v77
	v_sub_f16_e32 v65, v65, v70
	v_pack_b32_f16 v51, v51, v61
	v_fma_f16 v70, v65, s5, v77
	v_fma_f16 v65, v65, s4, v77
	v_pack_b32_f16 v77, v80, v81
	v_pack_b32_f16 v62, v82, v62
	ds_write_b32 v35, v51 offset:2808
	v_pack_b32_f16 v51, v71, v72
	v_pack_b32_f16 v61, v52, v63
	;; [unrolled: 1-line block ×3, first 2 shown]
	ds_write_b32 v35, v62 offset:1404
	ds_write2_b32 v35, v77, v51 offset1:117
	v_pack_b32_f16 v51, v73, v64
	ds_write_b32 v35, v52 offset:936
	v_pack_b32_f16 v52, v76, v70
	ds_write2_b32 v59, v51, v52 offset0:84 offset1:201
	v_pack_b32_f16 v51, v60, v65
	v_add_u32_e32 v52, 0xc00, v35
	v_add_co_u32_e64 v60, s[0:1], s0, v66
	ds_write2_b32 v52, v61, v51 offset0:51 offset1:168
	v_addc_co_u32_e64 v61, s[0:1], 0, v67, s[0:1]
	s_waitcnt lgkmcnt(0)
	s_barrier
	global_load_dword v51, v[60:61], off offset:116
	s_movk_i32 s0, 0x1074
	v_add_co_u32_e64 v60, s[0:1], s0, v66
	v_addc_co_u32_e64 v61, s[0:1], 0, v67, s[0:1]
	global_load_dword v66, v[60:61], off offset:1404
	global_load_dword v67, v[60:61], off offset:2808
	;; [unrolled: 1-line block ×8, first 2 shown]
	ds_read2_b32 v[60:61], v35 offset1:117
	s_mov_b32 s0, 0xffff
	s_waitcnt lgkmcnt(0)
	v_lshrrev_b32_e32 v62, 16, v60
	s_waitcnt vmcnt(8)
	v_mul_f16_sdwa v63, v62, v51 dst_sel:DWORD dst_unused:UNUSED_PAD src0_sel:DWORD src1_sel:WORD_1
	v_mul_f16_sdwa v64, v60, v51 dst_sel:DWORD dst_unused:UNUSED_PAD src0_sel:DWORD src1_sel:WORD_1
	v_fma_f16 v60, v60, v51, -v63
	v_fma_f16 v51, v62, v51, v64
	v_pack_b32_f16 v51, v60, v51
	ds_write_b32 v35, v51
	ds_read2_b32 v[62:63], v68 offset0:106 offset1:223
	ds_read2_b32 v[64:65], v69 offset0:62 offset1:179
	s_waitcnt lgkmcnt(1)
	v_lshrrev_b32_e32 v51, 16, v63
	s_waitcnt vmcnt(7)
	v_mul_f16_sdwa v60, v63, v66 dst_sel:DWORD dst_unused:UNUSED_PAD src0_sel:DWORD src1_sel:WORD_1
	v_mul_f16_sdwa v77, v51, v66 dst_sel:DWORD dst_unused:UNUSED_PAD src0_sel:DWORD src1_sel:WORD_1
	s_waitcnt lgkmcnt(0)
	v_lshrrev_b32_e32 v76, 16, v64
	v_fma_f16 v51, v51, v66, v60
	v_fma_f16 v63, v63, v66, -v77
	s_waitcnt vmcnt(6)
	v_mul_f16_sdwa v60, v76, v67 dst_sel:DWORD dst_unused:UNUSED_PAD src0_sel:DWORD src1_sel:WORD_1
	v_pack_b32_f16 v51, v63, v51
	v_mul_f16_sdwa v63, v64, v67 dst_sel:DWORD dst_unused:UNUSED_PAD src0_sel:DWORD src1_sel:WORD_1
	v_fma_f16 v60, v64, v67, -v60
	v_fma_f16 v63, v76, v67, v63
	v_pack_b32_f16 v66, v60, v63
	ds_read2_b32 v[63:64], v59 offset0:84 offset1:201
	v_lshrrev_b32_e32 v60, 16, v61
	s_waitcnt vmcnt(5)
	v_mul_f16_sdwa v67, v60, v70 dst_sel:DWORD dst_unused:UNUSED_PAD src0_sel:DWORD src1_sel:WORD_1
	v_fma_f16 v67, v61, v70, -v67
	v_mul_f16_sdwa v61, v61, v70 dst_sel:DWORD dst_unused:UNUSED_PAD src0_sel:DWORD src1_sel:WORD_1
	v_fma_f16 v60, v60, v70, v61
	v_pack_b32_f16 v61, v67, v60
	s_waitcnt lgkmcnt(0)
	v_lshrrev_b32_e32 v60, 16, v63
	s_waitcnt vmcnt(4)
	v_mul_f16_sdwa v67, v60, v71 dst_sel:DWORD dst_unused:UNUSED_PAD src0_sel:DWORD src1_sel:WORD_1
	v_fma_f16 v67, v63, v71, -v67
	v_mul_f16_sdwa v63, v63, v71 dst_sel:DWORD dst_unused:UNUSED_PAD src0_sel:DWORD src1_sel:WORD_1
	v_fma_f16 v60, v60, v71, v63
	v_pack_b32_f16 v63, v67, v60
	v_add_u32_e32 v60, 0x400, v35
	ds_write2_b32 v60, v51, v63 offset0:95 offset1:212
	v_lshrrev_b32_e32 v51, 16, v65
	s_waitcnt vmcnt(3)
	v_mul_f16_sdwa v63, v51, v72 dst_sel:DWORD dst_unused:UNUSED_PAD src0_sel:DWORD src1_sel:WORD_1
	v_fma_f16 v63, v65, v72, -v63
	v_mul_f16_sdwa v65, v65, v72 dst_sel:DWORD dst_unused:UNUSED_PAD src0_sel:DWORD src1_sel:WORD_1
	v_fma_f16 v51, v51, v72, v65
	v_pack_b32_f16 v51, v63, v51
	v_lshrrev_b32_e32 v63, 16, v62
	s_waitcnt vmcnt(0)
	v_mul_f16_sdwa v65, v63, v75 dst_sel:DWORD dst_unused:UNUSED_PAD src0_sel:DWORD src1_sel:WORD_1
	v_fma_f16 v65, v62, v75, -v65
	v_mul_f16_sdwa v62, v62, v75 dst_sel:DWORD dst_unused:UNUSED_PAD src0_sel:DWORD src1_sel:WORD_1
	v_fma_f16 v62, v63, v75, v62
	v_pack_b32_f16 v62, v65, v62
	ds_write2_b32 v35, v61, v62 offset0:117 offset1:234
	v_lshrrev_b32_e32 v61, 16, v64
	v_mul_f16_sdwa v62, v61, v74 dst_sel:DWORD dst_unused:UNUSED_PAD src0_sel:DWORD src1_sel:WORD_1
	v_fma_f16 v62, v64, v74, -v62
	v_mul_f16_sdwa v63, v64, v74 dst_sel:DWORD dst_unused:UNUSED_PAD src0_sel:DWORD src1_sel:WORD_1
	ds_read_b32 v64, v35 offset:3744
	v_fma_f16 v61, v61, v74, v63
	v_pack_b32_f16 v62, v62, v61
	v_add_u32_e32 v61, 0x800, v35
	ds_write2_b32 v61, v62, v66 offset0:73 offset1:190
	s_waitcnt lgkmcnt(1)
	v_lshrrev_b32_e32 v62, 16, v64
	v_mul_f16_sdwa v63, v62, v73 dst_sel:DWORD dst_unused:UNUSED_PAD src0_sel:DWORD src1_sel:WORD_1
	v_fma_f16 v63, v64, v73, -v63
	v_mul_f16_sdwa v64, v64, v73 dst_sel:DWORD dst_unused:UNUSED_PAD src0_sel:DWORD src1_sel:WORD_1
	v_fma_f16 v62, v62, v73, v64
	v_pack_b32_f16 v62, v63, v62
	ds_write2_b32 v52, v51, v62 offset0:51 offset1:168
	s_waitcnt lgkmcnt(0)
	s_barrier
	ds_read2_b32 v[62:63], v35 offset1:117
	ds_read2_b32 v[64:65], v59 offset0:84 offset1:201
	ds_read2_b32 v[66:67], v69 offset0:62 offset1:179
	s_waitcnt lgkmcnt(1)
	v_pk_add_f16 v51, v63, v64
	s_waitcnt lgkmcnt(0)
	v_pk_add_f16 v70, v64, v67
	v_pk_fma_f16 v70, v70, 0.5, v63 op_sel_hi:[1,0,1] neg_lo:[1,0,0] neg_hi:[1,0,0]
	v_pk_add_f16 v63, v64, v67 neg_lo:[0,1] neg_hi:[0,1]
	v_pk_add_f16 v51, v51, v67
	v_pk_mul_f16 v67, v63, s4 op_sel_hi:[1,0]
	ds_read2_b32 v[63:64], v68 offset0:106 offset1:223
	ds_read_b32 v72, v35 offset:3744
	v_pk_add_f16 v71, v70, v67 op_sel:[0,1] op_sel_hi:[1,0] neg_lo:[0,1] neg_hi:[0,1]
	v_pk_add_f16 v67, v70, v67 op_sel:[0,1] op_sel_hi:[1,0]
	v_bfi_b32 v70, s0, v71, v67
	s_waitcnt lgkmcnt(1)
	v_pk_add_f16 v73, v62, v64
	v_pk_add_f16 v74, v64, v66
	v_pk_add_f16 v64, v64, v66 neg_lo:[0,1] neg_hi:[0,1]
	v_pk_fma_f16 v62, v74, 0.5, v62 op_sel_hi:[1,0,1] neg_lo:[1,0,0] neg_hi:[1,0,0]
	v_pk_mul_f16 v64, v64, s4 op_sel_hi:[1,0]
	v_pk_add_f16 v73, v73, v66
	v_pk_add_f16 v66, v62, v64 op_sel:[0,1] op_sel_hi:[1,0] neg_lo:[0,1] neg_hi:[0,1]
	v_pk_add_f16 v62, v62, v64 op_sel:[0,1] op_sel_hi:[1,0]
	v_bfi_b32 v64, s0, v66, v62
	v_bfi_b32 v62, s0, v62, v66
	;; [unrolled: 1-line block ×3, first 2 shown]
	s_waitcnt lgkmcnt(0)
	s_barrier
	ds_write2_b32 v31, v73, v64 offset1:1
	ds_write_b32 v31, v62 offset:8
	ds_write2_b32 v33, v51, v70 offset1:1
	ds_write_b32 v33, v67 offset:8
	v_pk_add_f16 v31, v65, v72
	v_pk_add_f16 v33, v65, v72 neg_lo:[0,1] neg_hi:[0,1]
	v_pk_fma_f16 v31, v31, 0.5, v63 op_sel_hi:[1,0,1] neg_lo:[1,0,0] neg_hi:[1,0,0]
	v_pk_mul_f16 v33, v33, s4 op_sel_hi:[1,0]
	v_pk_add_f16 v71, v63, v65
	v_pk_add_f16 v51, v31, v33 op_sel:[0,1] op_sel_hi:[1,0] neg_lo:[0,1] neg_hi:[0,1]
	v_pk_add_f16 v31, v31, v33 op_sel:[0,1] op_sel_hi:[1,0]
	v_pk_add_f16 v71, v71, v72
	v_bfi_b32 v33, s0, v51, v31
	v_bfi_b32 v31, s0, v31, v51
	ds_write2_b32 v34, v71, v33 offset1:1
	ds_write_b32 v34, v31 offset:8
	s_waitcnt lgkmcnt(0)
	s_barrier
	ds_read2_b32 v[62:63], v35 offset1:117
	ds_read2_b32 v[64:65], v68 offset0:106 offset1:223
	ds_read2_b32 v[33:34], v69 offset0:62 offset1:179
	;; [unrolled: 1-line block ×3, first 2 shown]
	ds_read_b32 v70, v35 offset:3744
	s_waitcnt lgkmcnt(4)
	v_lshrrev_b32_e32 v31, 16, v62
	s_waitcnt lgkmcnt(3)
	v_lshrrev_b32_e32 v51, 16, v65
	v_mul_f16_sdwa v76, v17, v51 dst_sel:DWORD dst_unused:UNUSED_PAD src0_sel:WORD_1 src1_sel:DWORD
	s_waitcnt lgkmcnt(2)
	v_lshrrev_b32_e32 v68, 16, v33
	v_fma_f16 v76, v17, v65, v76
	v_mul_f16_sdwa v65, v17, v65 dst_sel:DWORD dst_unused:UNUSED_PAD src0_sel:WORD_1 src1_sel:DWORD
	v_fma_f16 v17, v17, v51, -v65
	v_mul_f16_sdwa v51, v18, v68 dst_sel:DWORD dst_unused:UNUSED_PAD src0_sel:WORD_1 src1_sel:DWORD
	s_waitcnt lgkmcnt(1)
	v_lshrrev_b32_e32 v71, 16, v66
	v_fma_f16 v65, v18, v33, v51
	v_mul_f16_sdwa v33, v18, v33 dst_sel:DWORD dst_unused:UNUSED_PAD src0_sel:WORD_1 src1_sel:DWORD
	v_fma_f16 v18, v18, v68, -v33
	v_mul_f16_sdwa v33, v13, v71 dst_sel:DWORD dst_unused:UNUSED_PAD src0_sel:WORD_1 src1_sel:DWORD
	v_lshrrev_b32_e32 v72, 16, v34
	v_fma_f16 v77, v13, v66, v33
	v_mul_f16_sdwa v33, v13, v66 dst_sel:DWORD dst_unused:UNUSED_PAD src0_sel:WORD_1 src1_sel:DWORD
	v_fma_f16 v71, v13, v71, -v33
	v_mul_f16_sdwa v13, v14, v72 dst_sel:DWORD dst_unused:UNUSED_PAD src0_sel:WORD_1 src1_sel:DWORD
	;; [unrolled: 5-line block ×3, first 2 shown]
	s_waitcnt lgkmcnt(0)
	v_lshrrev_b32_e32 v75, 16, v70
	v_fma_f16 v79, v15, v67, v13
	v_mul_f16_sdwa v13, v15, v67 dst_sel:DWORD dst_unused:UNUSED_PAD src0_sel:WORD_1 src1_sel:DWORD
	v_fma_f16 v74, v15, v74, -v13
	v_mul_f16_sdwa v13, v16, v75 dst_sel:DWORD dst_unused:UNUSED_PAD src0_sel:WORD_1 src1_sel:DWORD
	v_fma_f16 v80, v16, v70, v13
	v_mul_f16_sdwa v13, v16, v70 dst_sel:DWORD dst_unused:UNUSED_PAD src0_sel:WORD_1 src1_sel:DWORD
	v_add_f16_e32 v14, v76, v65
	v_fma_f16 v70, v16, v75, -v13
	v_fma_f16 v15, v14, -0.5, v62
	v_sub_f16_e32 v16, v17, v18
	v_fma_f16 v14, v16, s5, v15
	v_fma_f16 v33, v16, s4, v15
	v_add_f16_e32 v15, v31, v17
	v_add_f16_e32 v51, v15, v18
	;; [unrolled: 1-line block ×3, first 2 shown]
	v_fma_f16 v15, v15, -0.5, v31
	v_sub_f16_e32 v16, v76, v65
	v_fma_f16 v68, v16, s4, v15
	v_fma_f16 v66, v16, s5, v15
	v_add_f16_e32 v15, v63, v77
	v_add_f16_e32 v34, v15, v78
	;; [unrolled: 1-line block ×3, first 2 shown]
	v_lshrrev_b32_e32 v69, 16, v63
	v_fma_f16 v16, v15, -0.5, v63
	v_sub_f16_e32 v17, v71, v72
	v_fma_f16 v15, v17, s5, v16
	v_fma_f16 v16, v17, s4, v16
	v_add_f16_e32 v17, v69, v71
	v_add_f16_e32 v67, v17, v72
	;; [unrolled: 1-line block ×4, first 2 shown]
	v_fma_f16 v17, v17, -0.5, v69
	v_sub_f16_e32 v18, v77, v78
	v_add_f16_e32 v13, v13, v65
	v_fma_f16 v65, v18, s4, v17
	v_fma_f16 v62, v18, s5, v17
	v_add_f16_e32 v18, v79, v80
	v_lshrrev_b32_e32 v73, 16, v64
	v_fma_f16 v31, v18, -0.5, v64
	v_sub_f16_e32 v63, v74, v70
	v_add_f16_e32 v17, v64, v79
	v_fma_f16 v18, v63, s5, v31
	v_fma_f16 v31, v63, s4, v31
	v_add_f16_e32 v63, v73, v74
	v_add_f16_e32 v64, v74, v70
	;; [unrolled: 1-line block ×3, first 2 shown]
	v_fma_f16 v69, v64, -0.5, v73
	v_sub_f16_e32 v70, v79, v80
	v_fma_f16 v64, v70, s4, v69
	v_fma_f16 v69, v70, s5, v69
	v_pack_b32_f16 v70, v13, v51
	v_pack_b32_f16 v71, v14, v68
	s_barrier
	ds_write2_b32 v48, v70, v71 offset1:3
	v_pack_b32_f16 v70, v33, v66
	ds_write_b32 v48, v70 offset:24
	v_pack_b32_f16 v48, v34, v67
	v_pack_b32_f16 v70, v15, v65
	v_add_f16_e32 v17, v17, v80
	ds_write2_b32 v49, v48, v70 offset1:3
	v_pack_b32_f16 v48, v16, v62
	ds_write_b32 v49, v48 offset:24
	v_pack_b32_f16 v48, v17, v63
	v_pack_b32_f16 v49, v18, v64
	ds_write2_b32 v50, v48, v49 offset1:3
	v_pack_b32_f16 v48, v31, v69
	ds_write_b32 v50, v48 offset:24
	s_waitcnt lgkmcnt(0)
	s_barrier
	s_and_saveexec_b64 s[0:1], vcc
	s_cbranch_execz .LBB0_7
; %bb.6:
	ds_read2_b32 v[13:14], v35 offset1:81
	ds_read2_b32 v[33:34], v35 offset0:162 offset1:243
	ds_read2_b32 v[15:16], v60 offset0:68 offset1:149
	;; [unrolled: 1-line block ×5, first 2 shown]
	ds_read_b32 v57, v35 offset:3888
	s_waitcnt lgkmcnt(6)
	v_lshrrev_b32_e32 v51, 16, v13
	v_lshrrev_b32_e32 v68, 16, v14
	s_waitcnt lgkmcnt(5)
	v_lshrrev_b32_e32 v66, 16, v33
	v_lshrrev_b32_e32 v67, 16, v34
	;; [unrolled: 3-line block ×6, first 2 shown]
	s_waitcnt lgkmcnt(0)
	v_lshrrev_b32_e32 v58, 16, v57
.LBB0_7:
	s_or_b64 exec, exec, s[0:1]
	s_barrier
	s_and_saveexec_b64 s[0:1], vcc
	s_cbranch_execz .LBB0_9
; %bb.8:
	v_mul_f16_sdwa v49, v4, v14 dst_sel:DWORD dst_unused:UNUSED_PAD src0_sel:WORD_1 src1_sel:DWORD
	v_mul_f16_sdwa v59, v4, v68 dst_sel:DWORD dst_unused:UNUSED_PAD src0_sel:WORD_1 src1_sel:DWORD
	;; [unrolled: 1-line block ×3, first 2 shown]
	v_fma_f16 v49, v4, v68, -v49
	v_fma_f16 v4, v4, v14, v59
	v_mul_f16_sdwa v59, v5, v33 dst_sel:DWORD dst_unused:UNUSED_PAD src0_sel:WORD_1 src1_sel:DWORD
	v_fma_f16 v48, v11, v58, -v48
	v_mul_f16_sdwa v14, v11, v58 dst_sel:DWORD dst_unused:UNUSED_PAD src0_sel:WORD_1 src1_sel:DWORD
	v_mul_f16_sdwa v58, v10, v24 dst_sel:DWORD dst_unused:UNUSED_PAD src0_sel:WORD_1 src1_sel:DWORD
	v_fma_f16 v59, v5, v66, -v59
	v_mul_f16_sdwa v66, v5, v66 dst_sel:DWORD dst_unused:UNUSED_PAD src0_sel:WORD_1 src1_sel:DWORD
	v_add_f16_e32 v50, v48, v49
	v_fma_f16 v11, v11, v57, v14
	v_fma_f16 v58, v10, v56, -v58
	v_fma_f16 v5, v5, v33, v66
	v_mul_f16_sdwa v33, v10, v56 dst_sel:DWORD dst_unused:UNUSED_PAD src0_sel:WORD_1 src1_sel:DWORD
	v_mul_f16_e32 v52, 0xbbc4, v50
	v_sub_f16_e32 v14, v4, v11
	s_movk_i32 s17, 0x33a8
	v_add_f16_e32 v60, v58, v59
	v_fma_f16 v10, v10, v24, v33
	v_fma_f16 v57, v14, s17, v52
	v_mul_f16_e32 v61, 0x3b15, v60
	v_sub_f16_e32 v24, v5, v10
	s_mov_b32 s7, 0xb770
	v_add_f16_e32 v57, v51, v57
	v_fma_f16 v33, v24, s7, v61
	v_add_f16_e32 v33, v33, v57
	v_mul_f16_sdwa v57, v6, v34 dst_sel:DWORD dst_unused:UNUSED_PAD src0_sel:WORD_1 src1_sel:DWORD
	v_mul_f16_sdwa v56, v9, v23 dst_sel:DWORD dst_unused:UNUSED_PAD src0_sel:WORD_1 src1_sel:DWORD
	v_fma_f16 v57, v6, v67, -v57
	v_mul_f16_sdwa v67, v6, v67 dst_sel:DWORD dst_unused:UNUSED_PAD src0_sel:WORD_1 src1_sel:DWORD
	v_fma_f16 v56, v9, v55, -v56
	v_fma_f16 v6, v6, v34, v67
	v_mul_f16_sdwa v34, v9, v55 dst_sel:DWORD dst_unused:UNUSED_PAD src0_sel:WORD_1 src1_sel:DWORD
	v_add_f16_e32 v66, v56, v57
	v_fma_f16 v9, v9, v23, v34
	v_mul_f16_e32 v68, 0xb9fd, v66
	v_sub_f16_e32 v23, v6, v9
	s_movk_i32 s15, 0x394e
	v_fma_f16 v34, v23, s15, v68
	v_mul_f16_sdwa v55, v7, v15 dst_sel:DWORD dst_unused:UNUSED_PAD src0_sel:WORD_1 src1_sel:DWORD
	v_add_f16_e32 v33, v34, v33
	v_mul_f16_sdwa v34, v8, v32 dst_sel:DWORD dst_unused:UNUSED_PAD src0_sel:WORD_1 src1_sel:DWORD
	v_fma_f16 v55, v7, v65, -v55
	v_mul_f16_sdwa v65, v7, v65 dst_sel:DWORD dst_unused:UNUSED_PAD src0_sel:WORD_1 src1_sel:DWORD
	v_fma_f16 v34, v8, v54, -v34
	v_fma_f16 v7, v7, v15, v65
	v_mul_f16_sdwa v15, v8, v54 dst_sel:DWORD dst_unused:UNUSED_PAD src0_sel:WORD_1 src1_sel:DWORD
	v_add_f16_e32 v67, v34, v55
	v_fma_f16 v8, v8, v32, v15
	v_mul_f16_e32 v70, 0x388b, v67
	v_sub_f16_e32 v15, v7, v8
	s_mov_b32 s14, 0xba95
	v_fma_f16 v32, v15, s14, v70
	v_mul_f16_sdwa v54, v0, v16 dst_sel:DWORD dst_unused:UNUSED_PAD src0_sel:WORD_1 src1_sel:DWORD
	v_add_f16_e32 v32, v32, v33
	v_mul_f16_sdwa v33, v3, v31 dst_sel:DWORD dst_unused:UNUSED_PAD src0_sel:WORD_1 src1_sel:DWORD
	v_fma_f16 v54, v0, v62, -v54
	v_mul_f16_sdwa v62, v0, v62 dst_sel:DWORD dst_unused:UNUSED_PAD src0_sel:WORD_1 src1_sel:DWORD
	v_fma_f16 v33, v3, v69, -v33
	v_fma_f16 v0, v0, v16, v62
	v_mul_f16_sdwa v16, v3, v69 dst_sel:DWORD dst_unused:UNUSED_PAD src0_sel:WORD_1 src1_sel:DWORD
	v_add_f16_e32 v65, v33, v54
	v_fma_f16 v3, v3, v31, v16
	v_mul_f16_e32 v71, 0xb5ac, v65
	v_sub_f16_e32 v16, v0, v3
	s_movk_i32 s23, 0x3b7b
	v_fma_f16 v31, v16, s23, v71
	v_mul_f16_sdwa v62, v1, v17 dst_sel:DWORD dst_unused:UNUSED_PAD src0_sel:WORD_1 src1_sel:DWORD
	v_add_f16_e32 v31, v31, v32
	v_mul_f16_sdwa v32, v2, v18 dst_sel:DWORD dst_unused:UNUSED_PAD src0_sel:WORD_1 src1_sel:DWORD
	v_fma_f16 v62, v1, v63, -v62
	v_mul_f16_sdwa v63, v1, v63 dst_sel:DWORD dst_unused:UNUSED_PAD src0_sel:WORD_1 src1_sel:DWORD
	v_fma_f16 v32, v2, v64, -v32
	v_fma_f16 v1, v1, v17, v63
	v_mul_f16_sdwa v17, v2, v64 dst_sel:DWORD dst_unused:UNUSED_PAD src0_sel:WORD_1 src1_sel:DWORD
	v_add_f16_e32 v69, v32, v62
	v_fma_f16 v2, v2, v18, v17
	v_mul_f16_e32 v72, 0x2fb7, v69
	v_sub_f16_e32 v17, v1, v2
	s_mov_b32 s19, 0xbbf1
	v_fma_f16 v18, v17, s19, v72
	v_sub_f16_e32 v63, v49, v48
	s_mov_b32 s4, 0xbbc4
	v_add_f16_e32 v18, v18, v31
	v_add_f16_e32 v31, v11, v4
	v_mul_f16_e32 v64, 0xb3a8, v63
	v_sub_f16_e32 v75, v59, v58
	s_movk_i32 s5, 0x3b15
	v_fma_f16 v73, v31, s4, v64
	v_add_f16_e32 v74, v10, v5
	v_mul_f16_e32 v76, 0x3770, v75
	v_add_f16_e32 v73, v13, v73
	v_fma_f16 v77, v74, s5, v76
	v_sub_f16_e32 v78, v57, v56
	s_mov_b32 s6, 0xb9fd
	v_add_f16_e32 v73, v77, v73
	v_add_f16_e32 v77, v9, v6
	v_mul_f16_e32 v79, 0xb94e, v78
	v_fma_f16 v80, v77, s6, v79
	v_sub_f16_e32 v81, v55, v34
	s_movk_i32 s12, 0x388b
	v_add_f16_e32 v73, v80, v73
	v_add_f16_e32 v80, v8, v7
	v_mul_f16_e32 v82, 0x3a95, v81
	v_fma_f16 v83, v80, s12, v82
	v_sub_f16_e32 v84, v54, v33
	s_mov_b32 s13, 0xb5ac
	v_add_f16_e32 v73, v83, v73
	v_add_f16_e32 v83, v3, v0
	v_mul_f16_e32 v85, 0xbb7b, v84
	v_fma_f16 v86, v83, s13, v85
	v_sub_f16_e32 v87, v62, v32
	s_movk_i32 s16, 0x2fb7
	v_add_f16_e32 v73, v86, v73
	v_add_f16_e32 v86, v2, v1
	v_mul_f16_e32 v88, 0x3bf1, v87
	v_fma_f16 v89, v86, s16, v88
	v_add_f16_e32 v73, v89, v73
	v_mul_f16_e32 v89, 0xb9fd, v50
	v_fma_f16 v90, v14, s15, v89
	v_mul_f16_e32 v91, 0x2fb7, v60
	v_add_f16_e32 v90, v51, v90
	v_fma_f16 v92, v24, s19, v91
	s_movk_i32 s25, 0x3a95
	v_add_f16_e32 v90, v92, v90
	v_mul_f16_e32 v92, 0x388b, v66
	v_fma_f16 v93, v23, s25, v92
	s_mov_b32 s18, 0xb3a8
	v_add_f16_e32 v90, v93, v90
	v_mul_f16_e32 v93, 0xbbc4, v67
	v_fma_f16 v94, v15, s18, v93
	v_add_f16_e32 v90, v94, v90
	v_mul_f16_e32 v94, 0x3b15, v65
	v_fma_f16 v95, v16, s7, v94
	;; [unrolled: 3-line block ×4, first 2 shown]
	v_mul_f16_e32 v98, 0x3bf1, v75
	v_add_f16_e32 v97, v13, v97
	v_fma_f16 v99, v74, s16, v98
	v_add_f16_e32 v97, v99, v97
	v_mul_f16_e32 v99, 0xba95, v78
	v_fma_f16 v100, v77, s12, v99
	v_add_f16_e32 v97, v100, v97
	v_mul_f16_e32 v100, 0x33a8, v81
	;; [unrolled: 3-line block ×5, first 2 shown]
	s_mov_b32 s20, 0xb94e
	v_fma_f16 v104, v14, s23, v103
	v_mul_f16_e32 v105, 0xb9fd, v60
	v_add_f16_e32 v104, v51, v104
	v_fma_f16 v106, v24, s20, v105
	v_add_f16_e32 v104, v106, v104
	v_mul_f16_e32 v106, 0x3b15, v66
	v_fma_f16 v107, v23, s7, v106
	s_movk_i32 s24, 0x3bf1
	v_add_f16_e32 v104, v107, v104
	v_mul_f16_e32 v107, 0x2fb7, v67
	v_fma_f16 v108, v15, s24, v107
	v_add_f16_e32 v104, v108, v104
	v_mul_f16_e32 v108, 0xbbc4, v65
	v_fma_f16 v109, v16, s18, v108
	;; [unrolled: 3-line block ×4, first 2 shown]
	v_mul_f16_e32 v112, 0x394e, v75
	v_add_f16_e32 v4, v13, v4
	v_add_f16_e32 v111, v13, v111
	v_fma_f16 v113, v74, s6, v112
	v_add_f16_e32 v4, v5, v4
	v_add_f16_e32 v111, v113, v111
	v_mul_f16_e32 v113, 0x3770, v78
	v_add_f16_e32 v4, v6, v4
	v_fma_f16 v114, v77, s5, v113
	v_add_f16_e32 v4, v7, v4
	v_add_f16_e32 v111, v114, v111
	v_mul_f16_e32 v114, 0xbbf1, v81
	v_add_f16_e32 v0, v0, v4
	v_fma_f16 v115, v80, s16, v114
	v_add_f16_e32 v0, v1, v0
	s_movk_i32 s22, 0x3770
	v_add_f16_e32 v111, v115, v111
	v_mul_f16_e32 v115, 0x33a8, v84
	v_add_f16_e32 v0, v2, v0
	v_fma_f16 v2, v14, s18, v52
	v_fma_f16 v116, v83, s4, v115
	v_add_f16_e32 v0, v3, v0
	v_add_f16_e32 v2, v51, v2
	v_fma_f16 v3, v24, s22, v61
	v_add_f16_e32 v111, v116, v111
	v_mul_f16_e32 v116, 0x3a95, v87
	v_add_f16_e32 v2, v3, v2
	v_fma_f16 v3, v23, s20, v68
	s_mov_b32 s21, 0xbb7b
	v_fma_f16 v117, v86, s12, v116
	v_add_f16_e32 v2, v3, v2
	v_fma_f16 v3, v15, s25, v70
	v_add_f16_e32 v111, v117, v111
	v_mul_f16_e32 v117, 0x2fb7, v50
	v_add_f16_e32 v2, v3, v2
	v_fma_f16 v3, v16, s21, v71
	v_fma_f16 v118, v14, s24, v117
	v_mul_f16_e32 v119, 0xbbc4, v60
	v_add_f16_e32 v2, v3, v2
	v_fma_f16 v3, v17, s24, v72
	v_add_f16_e32 v118, v51, v118
	v_fma_f16 v120, v24, s17, v119
	v_add_f16_e32 v2, v3, v2
	v_fma_f16 v3, v31, s4, -v64
	v_add_f16_e32 v118, v120, v118
	v_mul_f16_e32 v120, 0xb5ac, v66
	v_add_f16_e32 v3, v13, v3
	v_fma_f16 v4, v74, s5, -v76
	v_fma_f16 v121, v23, s21, v120
	v_add_f16_e32 v3, v4, v3
	v_fma_f16 v4, v77, s6, -v79
	v_add_f16_e32 v118, v121, v118
	v_mul_f16_e32 v121, 0x3b15, v67
	v_add_f16_e32 v3, v4, v3
	v_fma_f16 v4, v80, s12, -v82
	;; [unrolled: 7-line block ×3, first 2 shown]
	v_fma_f16 v123, v16, s25, v122
	v_add_f16_e32 v3, v4, v3
	v_fma_f16 v4, v14, s20, v89
	v_add_f16_e32 v118, v123, v118
	v_mul_f16_e32 v123, 0xb9fd, v69
	v_add_f16_e32 v4, v51, v4
	v_fma_f16 v5, v24, s24, v91
	v_fma_f16 v124, v17, s15, v123
	v_add_f16_e32 v4, v5, v4
	v_fma_f16 v5, v23, s14, v92
	v_add_f16_e32 v118, v124, v118
	v_mul_f16_e32 v124, 0xbbf1, v63
	v_add_f16_e32 v4, v5, v4
	v_fma_f16 v5, v15, s17, v93
	v_fma_f16 v125, v31, s16, v124
	v_mul_f16_e32 v126, 0xb3a8, v75
	v_add_f16_e32 v4, v5, v4
	v_fma_f16 v5, v16, s22, v94
	v_add_f16_e32 v125, v13, v125
	v_fma_f16 v127, v74, s4, v126
	;; [unrolled: 2-line block ×3, first 2 shown]
	v_add_f16_e32 v125, v127, v125
	v_mul_f16_e32 v127, 0x3b7b, v78
	v_add_f16_e32 v4, v5, v4
	v_fma_f16 v5, v31, s6, -v96
	v_fma_f16 v128, v77, s13, v127
	v_add_f16_e32 v5, v13, v5
	v_fma_f16 v6, v74, s16, -v98
	v_add_f16_e32 v125, v128, v125
	v_mul_f16_e32 v128, 0x3770, v81
	v_add_f16_e32 v5, v6, v5
	v_fma_f16 v6, v77, s12, -v99
	v_fma_f16 v129, v80, s5, v128
	v_add_f16_e32 v5, v6, v5
	v_fma_f16 v6, v80, s4, -v100
	;; [unrolled: 7-line block ×3, first 2 shown]
	v_add_f16_e32 v125, v130, v125
	v_mul_f16_e32 v130, 0xb94e, v87
	v_add_f16_e32 v5, v6, v5
	v_fma_f16 v6, v14, s21, v103
	v_fma_f16 v131, v86, s6, v130
	v_add_f16_e32 v6, v51, v6
	v_fma_f16 v7, v24, s15, v105
	v_add_f16_e32 v125, v131, v125
	v_mul_f16_e32 v131, 0x388b, v50
	v_add_f16_e32 v6, v7, v6
	v_fma_f16 v7, v23, s22, v106
	v_fma_f16 v132, v14, s25, v131
	v_mul_f16_e32 v133, 0xb5ac, v60
	v_add_f16_e32 v6, v7, v6
	v_fma_f16 v7, v15, s19, v107
	v_add_f16_e32 v132, v51, v132
	v_fma_f16 v134, v24, s23, v133
	;; [unrolled: 2-line block ×3, first 2 shown]
	v_add_f16_e32 v132, v134, v132
	v_mul_f16_e32 v134, 0xbbc4, v66
	v_add_f16_e32 v6, v7, v6
	v_fma_f16 v7, v17, s25, v109
	v_fma_f16 v135, v23, s17, v134
	v_add_f16_e32 v6, v7, v6
	v_fma_f16 v7, v31, s13, -v110
	v_add_f16_e32 v132, v135, v132
	v_mul_f16_e32 v135, 0xb9fd, v67
	v_add_f16_e32 v0, v8, v0
	v_add_f16_e32 v7, v13, v7
	v_fma_f16 v8, v74, s6, -v112
	v_fma_f16 v136, v15, s20, v135
	v_add_f16_e32 v7, v8, v7
	v_fma_f16 v8, v77, s5, -v113
	v_add_f16_e32 v132, v136, v132
	v_mul_f16_e32 v136, 0x2fb7, v65
	v_add_f16_e32 v7, v8, v7
	v_fma_f16 v8, v80, s16, -v114
	v_fma_f16 v137, v16, s19, v136
	v_add_f16_e32 v7, v8, v7
	v_fma_f16 v8, v83, s4, -v115
	v_add_f16_e32 v132, v137, v132
	v_mul_f16_e32 v137, 0x3b15, v69
	v_add_f16_e32 v7, v8, v7
	v_fma_f16 v8, v86, s12, -v116
	v_fma_f16 v138, v17, s7, v137
	v_add_f16_e32 v7, v8, v7
	v_fma_f16 v8, v14, s19, v117
	v_add_f16_e32 v132, v138, v132
	v_mul_f16_e32 v138, 0xba95, v63
	v_add_f16_e32 v0, v9, v0
	v_add_f16_e32 v8, v51, v8
	v_fma_f16 v9, v24, s18, v119
	v_fma_f16 v139, v31, s12, v138
	v_mul_f16_e32 v140, 0xbb7b, v75
	v_add_f16_e32 v8, v9, v8
	v_fma_f16 v9, v23, s23, v120
	v_add_f16_e32 v139, v13, v139
	v_fma_f16 v141, v74, s13, v140
	;; [unrolled: 2-line block ×3, first 2 shown]
	v_add_f16_e32 v139, v141, v139
	v_mul_f16_e32 v141, 0xb3a8, v78
	v_add_f16_e32 v8, v9, v8
	v_fma_f16 v9, v16, s14, v122
	v_fma_f16 v142, v77, s4, v141
	v_add_f16_e32 v8, v9, v8
	v_fma_f16 v9, v17, s20, v123
	v_add_f16_e32 v139, v142, v139
	v_mul_f16_e32 v142, 0x394e, v81
	v_add_f16_e32 v8, v9, v8
	v_fma_f16 v9, v31, s16, -v124
	v_fma_f16 v143, v80, s6, v142
	v_add_f16_e32 v0, v10, v0
	v_add_f16_e32 v9, v13, v9
	v_fma_f16 v10, v74, s4, -v126
	v_add_f16_e32 v139, v143, v139
	v_mul_f16_e32 v143, 0x3bf1, v84
	v_add_f16_e32 v9, v10, v9
	v_fma_f16 v10, v77, s13, -v127
	v_fma_f16 v144, v83, s16, v143
	v_add_f16_e32 v9, v10, v9
	v_fma_f16 v10, v80, s5, -v128
	v_add_f16_e32 v139, v144, v139
	v_mul_f16_e32 v144, 0x3770, v87
	v_add_f16_e32 v9, v10, v9
	v_fma_f16 v10, v83, s12, -v129
	v_fma_f16 v145, v86, s5, v144
	v_mul_f16_e32 v50, 0x3b15, v50
	v_add_f16_e32 v9, v10, v9
	v_fma_f16 v10, v86, s6, -v130
	v_add_f16_e32 v139, v145, v139
	v_fma_f16 v145, v14, s22, v50
	v_mul_f16_e32 v60, 0x388b, v60
	v_add_f16_e32 v9, v10, v9
	v_fma_f16 v10, v14, s14, v131
	v_fma_f16 v14, v14, s7, v50
	v_add_f16_e32 v145, v51, v145
	v_fma_f16 v146, v24, s25, v60
	v_mul_f16_e32 v66, 0x2fb7, v66
	v_add_f16_e32 v0, v11, v0
	v_add_f16_e32 v1, v49, v51
	;; [unrolled: 1-line block ×3, first 2 shown]
	v_fma_f16 v11, v24, s21, v133
	v_add_f16_e32 v14, v51, v14
	v_fma_f16 v24, v24, s14, v60
	v_add_f16_e32 v145, v146, v145
	v_fma_f16 v146, v23, s24, v66
	v_mul_f16_e32 v67, 0xb5ac, v67
	v_add_f16_e32 v1, v59, v1
	v_add_f16_e32 v10, v11, v10
	v_fma_f16 v11, v23, s18, v134
	v_add_f16_e32 v14, v24, v14
	v_fma_f16 v23, v23, s19, v66
	v_add_f16_e32 v145, v146, v145
	v_fma_f16 v146, v15, s23, v67
	v_mul_f16_e32 v65, 0xb9fd, v65
	v_add_f16_e32 v1, v57, v1
	v_add_f16_e32 v10, v11, v10
	;; [unrolled: 8-line block ×5, first 2 shown]
	v_fma_f16 v11, v31, s12, -v138
	v_add_f16_e32 v14, v15, v14
	v_fma_f16 v15, v31, s5, -v63
	v_add_f16_e32 v146, v13, v146
	v_fma_f16 v147, v74, s12, v75
	v_mul_f16_e32 v78, 0xbbf1, v78
	v_add_f16_e32 v1, v32, v1
	v_add_f16_e32 v11, v13, v11
	;; [unrolled: 1-line block ×3, first 2 shown]
	v_fma_f16 v15, v74, s12, -v75
	v_add_f16_e32 v146, v147, v146
	v_fma_f16 v147, v77, s16, v78
	v_mul_f16_e32 v81, 0xbb7b, v81
	v_add_f16_e32 v1, v33, v1
	v_add_f16_e32 v13, v15, v13
	v_fma_f16 v15, v77, s16, -v78
	v_add_f16_e32 v146, v147, v146
	v_fma_f16 v147, v80, s13, v81
	v_mul_f16_e32 v84, 0xb94e, v84
	v_add_f16_e32 v1, v34, v1
	v_add_f16_e32 v13, v15, v13
	;; [unrolled: 6-line block ×3, first 2 shown]
	v_fma_f16 v15, v83, s6, -v84
	v_add_f16_e32 v146, v147, v146
	v_fma_f16 v147, v86, s4, v87
	v_add_f16_e32 v1, v58, v1
	v_add_f16_e32 v13, v15, v13
	v_fma_f16 v15, v86, s4, -v87
	v_add_f16_e32 v146, v147, v146
	v_add_f16_e32 v1, v48, v1
	v_fma_f16 v32, v74, s13, -v140
	v_add_f16_e32 v13, v15, v13
	v_mul_u32_u24_e32 v15, 0x75, v46
	v_add_f16_e32 v11, v32, v11
	v_fma_f16 v32, v77, s4, -v141
	v_add_lshl_u32 v15, v15, v47, 2
	v_pack_b32_f16 v0, v0, v1
	v_pack_b32_f16 v1, v146, v145
	v_add_f16_e32 v11, v32, v11
	v_fma_f16 v32, v80, s6, -v142
	ds_write2_b32 v15, v0, v1 offset1:9
	v_pack_b32_f16 v0, v139, v132
	v_pack_b32_f16 v1, v125, v118
	v_add_f16_e32 v11, v32, v11
	v_fma_f16 v32, v83, s16, -v143
	ds_write2_b32 v15, v0, v1 offset0:18 offset1:27
	v_pack_b32_f16 v0, v111, v104
	v_pack_b32_f16 v1, v97, v90
	v_add_f16_e32 v11, v32, v11
	v_fma_f16 v32, v86, s5, -v144
	ds_write2_b32 v15, v0, v1 offset0:36 offset1:45
	v_pack_b32_f16 v0, v73, v18
	v_pack_b32_f16 v1, v3, v2
	v_add_f16_e32 v11, v32, v11
	ds_write2_b32 v15, v0, v1 offset0:54 offset1:63
	v_pack_b32_f16 v0, v5, v4
	v_pack_b32_f16 v1, v7, v6
	ds_write2_b32 v15, v0, v1 offset0:72 offset1:81
	v_pack_b32_f16 v0, v9, v8
	v_pack_b32_f16 v1, v11, v10
	ds_write2_b32 v15, v0, v1 offset0:90 offset1:99
	v_pack_b32_f16 v0, v13, v14
	ds_write_b32 v15, v0 offset:432
.LBB0_9:
	s_or_b64 exec, exec, s[0:1]
	v_add_u32_e32 v13, 0x200, v35
	s_waitcnt lgkmcnt(0)
	s_barrier
	ds_read2_b32 v[4:5], v13 offset0:106 offset1:223
	v_add_u32_e32 v14, 0xa00, v35
	ds_read2_b32 v[6:7], v14 offset0:62 offset1:179
	v_add_u32_e32 v3, 0x600, v35
	ds_read2_b32 v[8:9], v3 offset0:84 offset1:201
	s_waitcnt lgkmcnt(2)
	v_lshrrev_b32_e32 v10, 16, v5
	v_mul_f16_sdwa v32, v19, v10 dst_sel:DWORD dst_unused:UNUSED_PAD src0_sel:WORD_1 src1_sel:DWORD
	s_waitcnt lgkmcnt(1)
	v_lshrrev_b32_e32 v11, 16, v6
	v_fma_f16 v32, v19, v5, v32
	v_mul_f16_sdwa v5, v19, v5 dst_sel:DWORD dst_unused:UNUSED_PAD src0_sel:WORD_1 src1_sel:DWORD
	v_fma_f16 v5, v19, v10, -v5
	v_mul_f16_sdwa v10, v20, v11 dst_sel:DWORD dst_unused:UNUSED_PAD src0_sel:WORD_1 src1_sel:DWORD
	s_waitcnt lgkmcnt(0)
	v_lshrrev_b32_e32 v17, 16, v8
	v_fma_f16 v10, v20, v6, v10
	v_mul_f16_sdwa v6, v20, v6 dst_sel:DWORD dst_unused:UNUSED_PAD src0_sel:WORD_1 src1_sel:DWORD
	ds_read_b32 v16, v35 offset:3744
	v_fma_f16 v6, v20, v11, -v6
	v_mul_f16_sdwa v11, v19, v17 dst_sel:DWORD dst_unused:UNUSED_PAD src0_sel:WORD_1 src1_sel:DWORD
	v_lshrrev_b32_e32 v18, 16, v7
	v_fma_f16 v11, v19, v8, v11
	v_mul_f16_sdwa v8, v19, v8 dst_sel:DWORD dst_unused:UNUSED_PAD src0_sel:WORD_1 src1_sel:DWORD
	ds_read2_b32 v[0:1], v35 offset1:117
	v_fma_f16 v8, v19, v17, -v8
	v_mul_f16_sdwa v17, v20, v18 dst_sel:DWORD dst_unused:UNUSED_PAD src0_sel:WORD_1 src1_sel:DWORD
	v_lshrrev_b32_e32 v24, 16, v9
	v_fma_f16 v17, v20, v7, v17
	v_mul_f16_sdwa v7, v20, v7 dst_sel:DWORD dst_unused:UNUSED_PAD src0_sel:WORD_1 src1_sel:DWORD
	v_fma_f16 v7, v20, v18, -v7
	v_mul_f16_sdwa v18, v21, v24 dst_sel:DWORD dst_unused:UNUSED_PAD src0_sel:WORD_1 src1_sel:DWORD
	s_waitcnt lgkmcnt(1)
	v_lshrrev_b32_e32 v31, 16, v16
	v_fma_f16 v18, v21, v9, v18
	v_mul_f16_sdwa v9, v21, v9 dst_sel:DWORD dst_unused:UNUSED_PAD src0_sel:WORD_1 src1_sel:DWORD
	v_fma_f16 v9, v21, v24, -v9
	v_mul_f16_sdwa v19, v22, v31 dst_sel:DWORD dst_unused:UNUSED_PAD src0_sel:WORD_1 src1_sel:DWORD
	v_add_f16_e32 v21, v32, v10
	s_waitcnt lgkmcnt(0)
	v_lshrrev_b32_e32 v2, 16, v0
	v_fma_f16 v19, v22, v16, v19
	v_mul_f16_sdwa v16, v22, v16 dst_sel:DWORD dst_unused:UNUSED_PAD src0_sel:WORD_1 src1_sel:DWORD
	v_add_f16_e32 v20, v0, v32
	v_fma_f16 v0, v21, -0.5, v0
	v_sub_f16_e32 v21, v5, v6
	s_mov_b32 s0, 0xbaee
	s_movk_i32 s1, 0x3aee
	v_fma_f16 v16, v22, v31, -v16
	v_fma_f16 v22, v21, s0, v0
	v_fma_f16 v0, v21, s1, v0
	v_add_f16_e32 v21, v2, v5
	v_add_f16_e32 v5, v5, v6
	;; [unrolled: 1-line block ×3, first 2 shown]
	v_fma_f16 v2, v5, -0.5, v2
	v_sub_f16_e32 v5, v32, v10
	v_add_f16_e32 v10, v11, v17
	v_lshrrev_b32_e32 v15, 16, v1
	v_add_f16_e32 v21, v21, v6
	v_fma_f16 v6, v5, s1, v2
	v_fma_f16 v2, v5, s0, v2
	v_add_f16_e32 v5, v1, v11
	v_fma_f16 v1, v10, -0.5, v1
	v_sub_f16_e32 v10, v8, v7
	v_fma_f16 v24, v10, s0, v1
	v_fma_f16 v1, v10, s1, v1
	v_add_f16_e32 v10, v15, v8
	v_add_f16_e32 v10, v10, v7
	;; [unrolled: 1-line block ×3, first 2 shown]
	v_fma_f16 v7, v7, -0.5, v15
	v_sub_f16_e32 v8, v11, v17
	v_add_f16_e32 v15, v18, v19
	v_lshrrev_b32_e32 v23, 16, v4
	v_fma_f16 v11, v8, s1, v7
	v_fma_f16 v7, v8, s0, v7
	v_add_f16_e32 v8, v4, v18
	v_fma_f16 v4, v15, -0.5, v4
	v_sub_f16_e32 v15, v9, v16
	v_add_f16_e32 v5, v5, v17
	v_fma_f16 v17, v15, s0, v4
	v_fma_f16 v4, v15, s1, v4
	v_add_f16_e32 v15, v23, v9
	v_add_f16_e32 v9, v9, v16
	;; [unrolled: 1-line block ×3, first 2 shown]
	v_fma_f16 v9, v9, -0.5, v23
	v_sub_f16_e32 v16, v18, v19
	v_fma_f16 v18, v16, s1, v9
	v_fma_f16 v9, v16, s0, v9
	v_pack_b32_f16 v16, v20, v21
	v_pack_b32_f16 v6, v22, v6
	;; [unrolled: 1-line block ×4, first 2 shown]
	v_add_f16_e32 v8, v8, v19
	s_barrier
	ds_write2_b32 v35, v16, v6 offset1:117
	ds_write2_b32 v13, v0, v2 offset0:106 offset1:223
	v_pack_b32_f16 v0, v24, v11
	v_pack_b32_f16 v1, v1, v7
	ds_write2_b32 v3, v0, v1 offset0:84 offset1:201
	v_pack_b32_f16 v0, v8, v15
	v_pack_b32_f16 v1, v17, v18
	v_add_u32_e32 v2, 0xa00, v53
	ds_write2_b32 v2, v0, v1 offset0:62 offset1:179
	v_pack_b32_f16 v0, v4, v9
	ds_write_b32 v53, v0 offset:3744
	s_waitcnt lgkmcnt(0)
	s_barrier
	ds_read2_b32 v[0:1], v35 offset1:117
	ds_read2_b32 v[4:5], v13 offset0:106 offset1:223
	ds_read2_b32 v[6:7], v14 offset0:62 offset1:179
	;; [unrolled: 1-line block ×3, first 2 shown]
	ds_read_b32 v16, v35 offset:3744
	s_waitcnt lgkmcnt(4)
	v_lshrrev_b32_e32 v2, 16, v0
	s_waitcnt lgkmcnt(3)
	v_lshrrev_b32_e32 v10, 16, v5
	v_mul_f16_sdwa v22, v25, v10 dst_sel:DWORD dst_unused:UNUSED_PAD src0_sel:WORD_1 src1_sel:DWORD
	s_waitcnt lgkmcnt(2)
	v_lshrrev_b32_e32 v11, 16, v6
	v_fma_f16 v22, v25, v5, v22
	v_mul_f16_sdwa v5, v25, v5 dst_sel:DWORD dst_unused:UNUSED_PAD src0_sel:WORD_1 src1_sel:DWORD
	v_fma_f16 v5, v25, v10, -v5
	v_mul_f16_sdwa v10, v26, v11 dst_sel:DWORD dst_unused:UNUSED_PAD src0_sel:WORD_1 src1_sel:DWORD
	s_waitcnt lgkmcnt(1)
	v_lshrrev_b32_e32 v17, 16, v8
	v_fma_f16 v10, v26, v6, v10
	v_mul_f16_sdwa v6, v26, v6 dst_sel:DWORD dst_unused:UNUSED_PAD src0_sel:WORD_1 src1_sel:DWORD
	v_fma_f16 v6, v26, v11, -v6
	v_mul_f16_sdwa v11, v27, v17 dst_sel:DWORD dst_unused:UNUSED_PAD src0_sel:WORD_1 src1_sel:DWORD
	v_lshrrev_b32_e32 v18, 16, v7
	v_fma_f16 v11, v27, v8, v11
	v_mul_f16_sdwa v8, v27, v8 dst_sel:DWORD dst_unused:UNUSED_PAD src0_sel:WORD_1 src1_sel:DWORD
	v_fma_f16 v8, v27, v17, -v8
	v_mul_f16_sdwa v17, v28, v18 dst_sel:DWORD dst_unused:UNUSED_PAD src0_sel:WORD_1 src1_sel:DWORD
	;; [unrolled: 5-line block ×3, first 2 shown]
	s_waitcnt lgkmcnt(0)
	v_lshrrev_b32_e32 v21, 16, v16
	v_fma_f16 v18, v29, v9, v18
	v_mul_f16_sdwa v9, v29, v9 dst_sel:DWORD dst_unused:UNUSED_PAD src0_sel:WORD_1 src1_sel:DWORD
	v_fma_f16 v9, v29, v20, -v9
	v_mul_f16_sdwa v20, v30, v21 dst_sel:DWORD dst_unused:UNUSED_PAD src0_sel:WORD_1 src1_sel:DWORD
	v_fma_f16 v20, v30, v16, v20
	v_mul_f16_sdwa v16, v30, v16 dst_sel:DWORD dst_unused:UNUSED_PAD src0_sel:WORD_1 src1_sel:DWORD
	v_add_f16_e32 v23, v22, v10
	v_fma_f16 v16, v30, v21, -v16
	v_add_f16_e32 v21, v0, v22
	v_fma_f16 v0, v23, -0.5, v0
	v_sub_f16_e32 v23, v5, v6
	v_fma_f16 v24, v23, s0, v0
	v_fma_f16 v0, v23, s1, v0
	v_add_f16_e32 v23, v2, v5
	v_add_f16_e32 v5, v5, v6
	;; [unrolled: 1-line block ×3, first 2 shown]
	v_fma_f16 v2, v5, -0.5, v2
	v_sub_f16_e32 v5, v22, v10
	v_add_f16_e32 v10, v11, v17
	v_lshrrev_b32_e32 v15, 16, v1
	v_add_f16_e32 v23, v23, v6
	v_fma_f16 v6, v5, s1, v2
	v_fma_f16 v2, v5, s0, v2
	v_add_f16_e32 v5, v1, v11
	v_fma_f16 v1, v10, -0.5, v1
	v_sub_f16_e32 v10, v8, v7
	v_fma_f16 v22, v10, s0, v1
	v_fma_f16 v1, v10, s1, v1
	v_add_f16_e32 v10, v15, v8
	v_add_f16_e32 v10, v10, v7
	;; [unrolled: 1-line block ×3, first 2 shown]
	v_fma_f16 v7, v7, -0.5, v15
	v_sub_f16_e32 v8, v11, v17
	v_add_f16_e32 v15, v18, v20
	v_lshrrev_b32_e32 v19, 16, v4
	v_fma_f16 v11, v8, s1, v7
	v_fma_f16 v7, v8, s0, v7
	v_add_f16_e32 v8, v4, v18
	v_fma_f16 v4, v15, -0.5, v4
	v_sub_f16_e32 v15, v9, v16
	v_add_f16_e32 v5, v5, v17
	v_fma_f16 v17, v15, s0, v4
	v_fma_f16 v4, v15, s1, v4
	v_add_f16_e32 v15, v19, v9
	v_add_f16_e32 v9, v9, v16
	;; [unrolled: 1-line block ×4, first 2 shown]
	v_fma_f16 v9, v9, -0.5, v19
	v_sub_f16_e32 v16, v18, v20
	v_pack_b32_f16 v0, v0, v2
	v_fma_f16 v18, v16, s1, v9
	v_fma_f16 v9, v16, s0, v9
	v_pack_b32_f16 v16, v21, v23
	v_pack_b32_f16 v6, v24, v6
	ds_write_b32 v35, v0 offset:2808
	v_pack_b32_f16 v0, v5, v10
	v_pack_b32_f16 v2, v8, v15
	ds_write_b32 v35, v6 offset:1404
	ds_write2_b32 v35, v16, v0 offset1:117
	v_pack_b32_f16 v0, v22, v11
	ds_write_b32 v35, v2 offset:936
	v_pack_b32_f16 v2, v17, v18
	v_pack_b32_f16 v1, v1, v7
	ds_write2_b32 v3, v0, v2 offset0:84 offset1:201
	v_pack_b32_f16 v0, v4, v9
	v_add_u32_e32 v2, 0xc00, v35
	ds_write2_b32 v2, v1, v0 offset0:51 offset1:168
	s_waitcnt lgkmcnt(0)
	s_barrier
	ds_read2_b32 v[4:5], v35 offset1:117
	s_mov_b32 s4, 0xad57473c
	s_mov_b32 s5, 0x3f4f1e63
	v_mad_u64_u32 v[6:7], s[0:1], s10, v12, 0
	s_waitcnt lgkmcnt(0)
	v_lshrrev_b32_e32 v9, 16, v4
	v_mul_f16_sdwa v0, v45, v9 dst_sel:DWORD dst_unused:UNUSED_PAD src0_sel:WORD_1 src1_sel:DWORD
	v_fma_f16 v0, v45, v4, v0
	v_cvt_f32_f16_e32 v0, v0
	s_movk_i32 s6, 0x1ff
	v_mov_b32_e32 v2, v7
	v_mad_u64_u32 v[7:8], s[0:1], s11, v12, v[2:3]
	v_cvt_f64_f32_e32 v[0:1], v0
	s_movk_i32 s7, 0xffe
	v_mul_f16_sdwa v4, v45, v4 dst_sel:DWORD dst_unused:UNUSED_PAD src0_sel:WORD_1 src1_sel:DWORD
	v_fma_f16 v4, v45, v9, -v4
	v_mul_f64 v[0:1], v[0:1], s[4:5]
	v_cvt_f32_f16_e32 v4, v4
	s_movk_i32 s10, 0x40f
	s_mov_b32 s11, 0x8000
	v_lshlrev_b64 v[6:7], 2, v[6:7]
	v_and_or_b32 v0, v1, s6, v0
	v_cmp_ne_u32_e32 vcc, 0, v0
	v_cndmask_b32_e64 v0, 0, 1, vcc
	v_lshrrev_b32_e32 v2, 8, v1
	v_bfe_u32 v8, v1, 20, 11
	v_and_or_b32 v0, v2, s7, v0
	v_sub_u32_e32 v10, 0x3f1, v8
	v_or_b32_e32 v2, 0x1000, v0
	v_med3_i32 v10, v10, 0, 13
	v_lshrrev_b32_e32 v11, v10, v2
	v_lshlrev_b32_e32 v10, v10, v11
	v_cmp_ne_u32_e32 vcc, v10, v2
	v_cndmask_b32_e64 v2, 0, 1, vcc
	v_add_u32_e32 v10, 0xfffffc10, v8
	v_or_b32_e32 v2, v11, v2
	v_lshl_or_b32 v8, v10, 12, v0
	v_cmp_gt_i32_e32 vcc, 1, v10
	v_cndmask_b32_e32 v2, v8, v2, vcc
	v_and_b32_e32 v8, 7, v2
	v_cmp_lt_i32_e32 vcc, 5, v8
	v_cmp_eq_u32_e64 s[0:1], 3, v8
	v_cvt_f64_f32_e32 v[8:9], v4
	v_lshrrev_b32_e32 v2, 2, v2
	s_or_b64 vcc, s[0:1], vcc
	v_addc_co_u32_e32 v11, vcc, 0, v2, vcc
	v_mul_f64 v[8:9], v[8:9], s[4:5]
	v_mov_b32_e32 v2, 0x7c00
	v_cmp_gt_i32_e32 vcc, 31, v10
	v_cndmask_b32_e32 v4, v2, v11, vcc
	v_cmp_ne_u32_e32 vcc, 0, v0
	v_cndmask_b32_e64 v0, 0, 1, vcc
	v_lshl_or_b32 v0, v0, 9, v2
	v_cmp_eq_u32_e32 vcc, s10, v10
	v_cndmask_b32_e32 v0, v4, v0, vcc
	v_lshrrev_b32_e32 v1, 16, v1
	v_and_or_b32 v12, v1, s11, v0
	v_and_or_b32 v0, v9, s6, v8
	v_cmp_ne_u32_e32 vcc, 0, v0
	v_cndmask_b32_e64 v0, 0, 1, vcc
	v_lshrrev_b32_e32 v1, 8, v9
	v_bfe_u32 v4, v9, 20, 11
	v_and_or_b32 v0, v1, s7, v0
	v_sub_u32_e32 v8, 0x3f1, v4
	v_or_b32_e32 v1, 0x1000, v0
	v_med3_i32 v8, v8, 0, 13
	v_lshrrev_b32_e32 v10, v8, v1
	v_lshlrev_b32_e32 v8, v8, v10
	v_cmp_ne_u32_e32 vcc, v8, v1
	v_cndmask_b32_e64 v1, 0, 1, vcc
	v_add_u32_e32 v4, 0xfffffc10, v4
	v_or_b32_e32 v1, v10, v1
	v_lshl_or_b32 v8, v4, 12, v0
	v_cmp_gt_i32_e32 vcc, 1, v4
	v_cndmask_b32_e32 v1, v8, v1, vcc
	v_and_b32_e32 v8, 7, v1
	v_cmp_lt_i32_e32 vcc, 5, v8
	v_cmp_eq_u32_e64 s[0:1], 3, v8
	v_lshrrev_b32_e32 v1, 2, v1
	s_or_b64 vcc, s[0:1], vcc
	v_addc_co_u32_e32 v1, vcc, 0, v1, vcc
	v_cmp_gt_i32_e32 vcc, 31, v4
	v_cndmask_b32_e32 v1, v2, v1, vcc
	v_cmp_ne_u32_e32 vcc, 0, v0
	v_cndmask_b32_e64 v0, 0, 1, vcc
	v_lshl_or_b32 v0, v0, 9, v2
	v_cmp_eq_u32_e32 vcc, s10, v4
	v_cndmask_b32_e32 v4, v1, v0, vcc
	v_mad_u64_u32 v[10:11], s[0:1], s8, v44, 0
	ds_read2_b32 v[0:1], v13 offset0:106 offset1:223
	v_lshrrev_b32_e32 v8, 16, v9
	v_and_or_b32 v13, v8, s11, v4
	v_mov_b32_e32 v4, v11
	v_mad_u64_u32 v[8:9], s[0:1], s9, v44, v[4:5]
	s_waitcnt lgkmcnt(0)
	v_lshrrev_b32_e32 v4, 16, v1
	v_mul_f16_sdwa v9, v43, v4 dst_sel:DWORD dst_unused:UNUSED_PAD src0_sel:WORD_1 src1_sel:DWORD
	v_fma_f16 v9, v43, v1, v9
	v_cvt_f32_f16_e32 v9, v9
	v_mov_b32_e32 v11, v8
	v_and_b32_e32 v12, 0xffff, v12
	v_lshl_or_b32 v12, v13, 16, v12
	v_cvt_f64_f32_e32 v[8:9], v9
	v_mov_b32_e32 v13, s3
	v_add_co_u32_e32 v15, vcc, s2, v6
	v_mul_f64 v[8:9], v[8:9], s[4:5]
	v_addc_co_u32_e32 v13, vcc, v13, v7, vcc
	v_lshlrev_b64 v[6:7], 2, v[10:11]
	v_mul_f16_sdwa v1, v43, v1 dst_sel:DWORD dst_unused:UNUSED_PAD src0_sel:WORD_1 src1_sel:DWORD
	v_add_co_u32_e32 v6, vcc, v15, v6
	v_addc_co_u32_e32 v7, vcc, v13, v7, vcc
	v_and_or_b32 v8, v9, s6, v8
	v_cmp_ne_u32_e32 vcc, 0, v8
	v_cndmask_b32_e64 v8, 0, 1, vcc
	v_lshrrev_b32_e32 v10, 8, v9
	v_bfe_u32 v11, v9, 20, 11
	global_store_dword v[6:7], v12, off
	v_and_or_b32 v8, v10, s7, v8
	v_sub_u32_e32 v12, 0x3f1, v11
	v_or_b32_e32 v10, 0x1000, v8
	v_med3_i32 v12, v12, 0, 13
	v_lshrrev_b32_e32 v13, v12, v10
	v_lshlrev_b32_e32 v12, v12, v13
	v_cmp_ne_u32_e32 vcc, v12, v10
	v_fma_f16 v1, v43, v4, -v1
	v_cndmask_b32_e64 v10, 0, 1, vcc
	v_add_u32_e32 v12, 0xfffffc10, v11
	v_cvt_f32_f16_e32 v1, v1
	v_or_b32_e32 v10, v13, v10
	v_lshl_or_b32 v11, v12, 12, v8
	v_cmp_gt_i32_e32 vcc, 1, v12
	v_cndmask_b32_e32 v10, v11, v10, vcc
	v_and_b32_e32 v11, 7, v10
	v_cmp_lt_i32_e32 vcc, 5, v11
	v_cmp_eq_u32_e64 s[0:1], 3, v11
	v_lshrrev_b32_e32 v4, 2, v10
	v_cvt_f64_f32_e32 v[10:11], v1
	s_or_b64 vcc, s[0:1], vcc
	v_addc_co_u32_e32 v1, vcc, 0, v4, vcc
	v_mul_f64 v[10:11], v[10:11], s[4:5]
	v_cmp_gt_i32_e32 vcc, 31, v12
	v_cndmask_b32_e32 v1, v2, v1, vcc
	v_cmp_ne_u32_e32 vcc, 0, v8
	v_cndmask_b32_e64 v4, 0, 1, vcc
	v_lshl_or_b32 v4, v4, 9, v2
	v_cmp_eq_u32_e32 vcc, s10, v12
	v_cndmask_b32_e32 v1, v1, v4, vcc
	v_lshrrev_b32_e32 v4, 16, v9
	v_and_or_b32 v1, v4, s11, v1
	v_and_or_b32 v4, v11, s6, v10
	v_cmp_ne_u32_e32 vcc, 0, v4
	v_cndmask_b32_e64 v4, 0, 1, vcc
	v_lshrrev_b32_e32 v8, 8, v11
	v_bfe_u32 v9, v11, 20, 11
	v_and_or_b32 v4, v8, s7, v4
	v_sub_u32_e32 v10, 0x3f1, v9
	v_or_b32_e32 v8, 0x1000, v4
	v_med3_i32 v10, v10, 0, 13
	v_lshrrev_b32_e32 v12, v10, v8
	v_lshlrev_b32_e32 v10, v10, v12
	v_cmp_ne_u32_e32 vcc, v10, v8
	v_cndmask_b32_e64 v8, 0, 1, vcc
	v_add_u32_e32 v10, 0xfffffc10, v9
	v_or_b32_e32 v8, v12, v8
	v_lshl_or_b32 v9, v10, 12, v4
	v_cmp_gt_i32_e32 vcc, 1, v10
	v_cndmask_b32_e32 v8, v9, v8, vcc
	v_and_b32_e32 v9, 7, v8
	v_cmp_lt_i32_e32 vcc, 5, v9
	v_cmp_eq_u32_e64 s[0:1], 3, v9
	v_lshrrev_b32_e32 v8, 2, v8
	s_or_b64 vcc, s[0:1], vcc
	v_addc_co_u32_e32 v8, vcc, 0, v8, vcc
	v_cmp_gt_i32_e32 vcc, 31, v10
	v_cndmask_b32_e32 v12, v2, v8, vcc
	ds_read2_b32 v[8:9], v14 offset0:62 offset1:179
	v_cmp_ne_u32_e32 vcc, 0, v4
	v_cndmask_b32_e64 v4, 0, 1, vcc
	v_lshl_or_b32 v4, v4, 9, v2
	v_cmp_eq_u32_e32 vcc, s10, v10
	v_cndmask_b32_e32 v4, v12, v4, vcc
	s_waitcnt lgkmcnt(0)
	v_lshrrev_b32_e32 v12, 16, v8
	v_lshrrev_b32_e32 v10, 16, v11
	v_mul_f16_sdwa v11, v42, v12 dst_sel:DWORD dst_unused:UNUSED_PAD src0_sel:WORD_1 src1_sel:DWORD
	v_fma_f16 v11, v42, v8, v11
	v_cvt_f32_f16_e32 v11, v11
	v_and_or_b32 v4, v10, s11, v4
	s_mul_i32 s0, s9, 0x57c
	s_mul_hi_u32 s2, s8, 0x57c
	v_cvt_f64_f32_e32 v[10:11], v11
	v_and_b32_e32 v1, 0xffff, v1
	s_add_i32 s2, s2, s0
	s_mul_i32 s3, s8, 0x57c
	v_mul_f64 v[10:11], v[10:11], s[4:5]
	v_lshl_or_b32 v1, v4, 16, v1
	v_mov_b32_e32 v4, s2
	v_add_co_u32_e32 v6, vcc, s3, v6
	v_addc_co_u32_e32 v7, vcc, v7, v4, vcc
	global_store_dword v[6:7], v1, off
	v_and_or_b32 v1, v11, s6, v10
	v_cmp_ne_u32_e32 vcc, 0, v1
	v_cndmask_b32_e64 v1, 0, 1, vcc
	v_lshrrev_b32_e32 v4, 8, v11
	v_bfe_u32 v10, v11, 20, 11
	v_and_or_b32 v1, v4, s7, v1
	v_sub_u32_e32 v13, 0x3f1, v10
	v_or_b32_e32 v4, 0x1000, v1
	v_med3_i32 v13, v13, 0, 13
	v_lshrrev_b32_e32 v14, v13, v4
	v_lshlrev_b32_e32 v13, v13, v14
	v_mul_f16_sdwa v8, v42, v8 dst_sel:DWORD dst_unused:UNUSED_PAD src0_sel:WORD_1 src1_sel:DWORD
	v_cmp_ne_u32_e32 vcc, v13, v4
	v_fma_f16 v8, v42, v12, -v8
	v_cndmask_b32_e64 v4, 0, 1, vcc
	v_add_u32_e32 v10, 0xfffffc10, v10
	v_cvt_f32_f16_e32 v8, v8
	v_or_b32_e32 v4, v14, v4
	v_lshl_or_b32 v13, v10, 12, v1
	v_cmp_gt_i32_e32 vcc, 1, v10
	v_cndmask_b32_e32 v4, v13, v4, vcc
	v_and_b32_e32 v13, 7, v4
	v_cmp_lt_i32_e32 vcc, 5, v13
	v_cmp_eq_u32_e64 s[0:1], 3, v13
	v_cvt_f64_f32_e32 v[12:13], v8
	v_lshrrev_b32_e32 v4, 2, v4
	s_or_b64 vcc, s[0:1], vcc
	v_addc_co_u32_e32 v4, vcc, 0, v4, vcc
	v_mul_f64 v[12:13], v[12:13], s[4:5]
	v_cmp_gt_i32_e32 vcc, 31, v10
	v_cndmask_b32_e32 v4, v2, v4, vcc
	v_cmp_ne_u32_e32 vcc, 0, v1
	v_cndmask_b32_e64 v1, 0, 1, vcc
	v_lshl_or_b32 v1, v1, 9, v2
	v_cmp_eq_u32_e32 vcc, s10, v10
	v_cndmask_b32_e32 v1, v4, v1, vcc
	v_lshrrev_b32_e32 v4, 16, v11
	v_and_or_b32 v1, v4, s11, v1
	v_and_or_b32 v4, v13, s6, v12
	v_cmp_ne_u32_e32 vcc, 0, v4
	v_cndmask_b32_e64 v4, 0, 1, vcc
	v_lshrrev_b32_e32 v8, 8, v13
	v_bfe_u32 v10, v13, 20, 11
	v_and_or_b32 v4, v8, s7, v4
	v_sub_u32_e32 v11, 0x3f1, v10
	v_or_b32_e32 v8, 0x1000, v4
	v_med3_i32 v11, v11, 0, 13
	v_lshrrev_b32_e32 v12, v11, v8
	v_lshlrev_b32_e32 v11, v11, v12
	v_cmp_ne_u32_e32 vcc, v11, v8
	v_cndmask_b32_e64 v8, 0, 1, vcc
	v_add_u32_e32 v10, 0xfffffc10, v10
	v_or_b32_e32 v8, v12, v8
	v_lshl_or_b32 v11, v10, 12, v4
	v_cmp_gt_i32_e32 vcc, 1, v10
	v_cndmask_b32_e32 v8, v11, v8, vcc
	v_and_b32_e32 v11, 7, v8
	v_lshrrev_b32_e32 v12, 16, v5
	v_cmp_lt_i32_e32 vcc, 5, v11
	v_cmp_eq_u32_e64 s[0:1], 3, v11
	v_mul_f16_sdwa v11, v41, v12 dst_sel:DWORD dst_unused:UNUSED_PAD src0_sel:WORD_1 src1_sel:DWORD
	v_fma_f16 v11, v41, v5, v11
	v_lshrrev_b32_e32 v8, 2, v8
	s_or_b64 vcc, s[0:1], vcc
	v_cvt_f32_f16_e32 v11, v11
	v_addc_co_u32_e32 v8, vcc, 0, v8, vcc
	v_cmp_gt_i32_e32 vcc, 31, v10
	v_cndmask_b32_e32 v8, v2, v8, vcc
	v_cmp_ne_u32_e32 vcc, 0, v4
	v_cndmask_b32_e64 v4, 0, 1, vcc
	v_cmp_eq_u32_e32 vcc, s10, v10
	v_cvt_f64_f32_e32 v[10:11], v11
	v_lshl_or_b32 v4, v4, 9, v2
	v_cndmask_b32_e32 v4, v8, v4, vcc
	v_lshrrev_b32_e32 v8, 16, v13
	v_mul_f64 v[10:11], v[10:11], s[4:5]
	v_and_or_b32 v4, v8, s11, v4
	v_and_b32_e32 v1, 0xffff, v1
	v_lshl_or_b32 v1, v4, 16, v1
	v_mov_b32_e32 v4, s2
	v_add_co_u32_e32 v6, vcc, s3, v6
	v_addc_co_u32_e32 v7, vcc, v7, v4, vcc
	global_store_dword v[6:7], v1, off
	v_and_or_b32 v1, v11, s6, v10
	v_cmp_ne_u32_e32 vcc, 0, v1
	v_cndmask_b32_e64 v1, 0, 1, vcc
	v_lshrrev_b32_e32 v4, 8, v11
	v_bfe_u32 v8, v11, 20, 11
	v_and_or_b32 v1, v4, s7, v1
	v_sub_u32_e32 v10, 0x3f1, v8
	v_or_b32_e32 v4, 0x1000, v1
	v_med3_i32 v10, v10, 0, 13
	v_lshrrev_b32_e32 v13, v10, v4
	v_lshlrev_b32_e32 v10, v10, v13
	v_mul_f16_sdwa v5, v41, v5 dst_sel:DWORD dst_unused:UNUSED_PAD src0_sel:WORD_1 src1_sel:DWORD
	v_cmp_ne_u32_e32 vcc, v10, v4
	v_fma_f16 v5, v41, v12, -v5
	v_cndmask_b32_e64 v4, 0, 1, vcc
	v_add_u32_e32 v8, 0xfffffc10, v8
	v_cvt_f32_f16_e32 v5, v5
	v_or_b32_e32 v4, v13, v4
	v_lshl_or_b32 v10, v8, 12, v1
	v_cmp_gt_i32_e32 vcc, 1, v8
	v_cndmask_b32_e32 v4, v10, v4, vcc
	v_and_b32_e32 v10, 7, v4
	v_cmp_lt_i32_e32 vcc, 5, v10
	v_cmp_eq_u32_e64 s[0:1], 3, v10
	v_lshrrev_b32_e32 v10, 2, v4
	v_cvt_f64_f32_e32 v[4:5], v5
	s_or_b64 vcc, s[0:1], vcc
	v_addc_co_u32_e32 v10, vcc, 0, v10, vcc
	v_mul_f64 v[4:5], v[4:5], s[4:5]
	v_cmp_gt_i32_e32 vcc, 31, v8
	v_cndmask_b32_e32 v10, v2, v10, vcc
	v_cmp_ne_u32_e32 vcc, 0, v1
	v_cndmask_b32_e64 v1, 0, 1, vcc
	v_lshl_or_b32 v1, v1, 9, v2
	v_cmp_eq_u32_e32 vcc, s10, v8
	v_cndmask_b32_e32 v1, v10, v1, vcc
	v_and_or_b32 v4, v5, s6, v4
	v_lshrrev_b32_e32 v8, 16, v11
	v_cmp_ne_u32_e32 vcc, 0, v4
	v_and_or_b32 v1, v8, s11, v1
	v_cndmask_b32_e64 v4, 0, 1, vcc
	v_lshrrev_b32_e32 v8, 8, v5
	v_bfe_u32 v10, v5, 20, 11
	v_and_or_b32 v8, v8, s7, v4
	v_sub_u32_e32 v11, 0x3f1, v10
	v_or_b32_e32 v4, 0x1000, v8
	v_med3_i32 v11, v11, 0, 13
	v_lshrrev_b32_e32 v12, v11, v4
	v_lshlrev_b32_e32 v11, v11, v12
	v_cmp_ne_u32_e32 vcc, v11, v4
	v_cndmask_b32_e64 v4, 0, 1, vcc
	v_add_u32_e32 v10, 0xfffffc10, v10
	v_or_b32_e32 v4, v12, v4
	v_lshl_or_b32 v11, v10, 12, v8
	v_cmp_gt_i32_e32 vcc, 1, v10
	v_cndmask_b32_e32 v4, v11, v4, vcc
	v_and_b32_e32 v11, 7, v4
	v_cmp_lt_i32_e32 vcc, 5, v11
	v_cmp_eq_u32_e64 s[0:1], 3, v11
	v_lshrrev_b32_e32 v4, 2, v4
	s_or_b64 vcc, s[0:1], vcc
	v_addc_co_u32_e32 v11, vcc, 0, v4, vcc
	ds_read2_b32 v[3:4], v3 offset0:84 offset1:201
	v_cmp_gt_i32_e32 vcc, 31, v10
	v_cndmask_b32_e32 v11, v2, v11, vcc
	v_cmp_ne_u32_e32 vcc, 0, v8
	v_cndmask_b32_e64 v8, 0, 1, vcc
	s_waitcnt lgkmcnt(0)
	v_lshrrev_b32_e32 v12, 16, v3
	v_mul_f16_sdwa v13, v40, v12 dst_sel:DWORD dst_unused:UNUSED_PAD src0_sel:WORD_1 src1_sel:DWORD
	v_fma_f16 v13, v40, v3, v13
	v_cvt_f32_f16_e32 v13, v13
	v_lshl_or_b32 v8, v8, 9, v2
	v_cmp_eq_u32_e32 vcc, s10, v10
	v_cndmask_b32_e32 v8, v11, v8, vcc
	v_cvt_f64_f32_e32 v[10:11], v13
	v_lshrrev_b32_e32 v5, 16, v5
	v_mov_b32_e32 v13, 0xfffff6dc
	v_and_or_b32 v8, v5, s11, v8
	v_mul_f64 v[10:11], v[10:11], s[4:5]
	v_mad_u64_u32 v[5:6], s[0:1], s8, v13, v[6:7]
	s_mul_i32 s0, s9, 0xfffff6dc
	v_and_b32_e32 v1, 0xffff, v1
	s_sub_i32 s9, s0, s8
	v_lshl_or_b32 v1, v8, 16, v1
	v_add_u32_e32 v6, s9, v6
	global_store_dword v[5:6], v1, off
	v_and_or_b32 v1, v11, s6, v10
	v_cmp_ne_u32_e32 vcc, 0, v1
	v_cndmask_b32_e64 v1, 0, 1, vcc
	v_lshrrev_b32_e32 v7, 8, v11
	v_bfe_u32 v8, v11, 20, 11
	v_and_or_b32 v1, v7, s7, v1
	v_sub_u32_e32 v10, 0x3f1, v8
	v_or_b32_e32 v7, 0x1000, v1
	v_med3_i32 v10, v10, 0, 13
	v_lshrrev_b32_e32 v14, v10, v7
	v_lshlrev_b32_e32 v10, v10, v14
	v_mul_f16_sdwa v3, v40, v3 dst_sel:DWORD dst_unused:UNUSED_PAD src0_sel:WORD_1 src1_sel:DWORD
	v_cmp_ne_u32_e32 vcc, v10, v7
	v_fma_f16 v3, v40, v12, -v3
	v_cndmask_b32_e64 v7, 0, 1, vcc
	v_add_u32_e32 v10, 0xfffffc10, v8
	v_cvt_f32_f16_e32 v3, v3
	v_or_b32_e32 v7, v14, v7
	v_lshl_or_b32 v8, v10, 12, v1
	v_cmp_gt_i32_e32 vcc, 1, v10
	v_cndmask_b32_e32 v7, v8, v7, vcc
	v_and_b32_e32 v8, 7, v7
	v_cmp_lt_i32_e32 vcc, 5, v8
	v_cmp_eq_u32_e64 s[0:1], 3, v8
	v_lshrrev_b32_e32 v12, 2, v7
	v_cvt_f64_f32_e32 v[7:8], v3
	s_or_b64 vcc, s[0:1], vcc
	v_addc_co_u32_e32 v3, vcc, 0, v12, vcc
	v_mul_f64 v[7:8], v[7:8], s[4:5]
	v_cmp_gt_i32_e32 vcc, 31, v10
	v_cndmask_b32_e32 v3, v2, v3, vcc
	v_cmp_ne_u32_e32 vcc, 0, v1
	v_cndmask_b32_e64 v1, 0, 1, vcc
	v_lshl_or_b32 v1, v1, 9, v2
	v_cmp_eq_u32_e32 vcc, s10, v10
	v_cndmask_b32_e32 v1, v3, v1, vcc
	v_lshrrev_b32_e32 v3, 16, v11
	v_and_or_b32 v1, v3, s11, v1
	v_and_or_b32 v3, v8, s6, v7
	v_cmp_ne_u32_e32 vcc, 0, v3
	v_cndmask_b32_e64 v3, 0, 1, vcc
	v_lshrrev_b32_e32 v7, 8, v8
	v_bfe_u32 v10, v8, 20, 11
	v_and_or_b32 v3, v7, s7, v3
	v_sub_u32_e32 v11, 0x3f1, v10
	v_or_b32_e32 v7, 0x1000, v3
	v_med3_i32 v11, v11, 0, 13
	v_lshrrev_b32_e32 v12, v11, v7
	v_lshlrev_b32_e32 v11, v11, v12
	v_cmp_ne_u32_e32 vcc, v11, v7
	v_cndmask_b32_e64 v7, 0, 1, vcc
	v_add_u32_e32 v10, 0xfffffc10, v10
	v_or_b32_e32 v7, v12, v7
	v_lshl_or_b32 v11, v10, 12, v3
	v_cmp_gt_i32_e32 vcc, 1, v10
	v_cndmask_b32_e32 v7, v11, v7, vcc
	v_and_b32_e32 v11, 7, v7
	v_lshrrev_b32_e32 v12, 16, v9
	v_cmp_lt_i32_e32 vcc, 5, v11
	v_cmp_eq_u32_e64 s[0:1], 3, v11
	v_mul_f16_sdwa v11, v39, v12 dst_sel:DWORD dst_unused:UNUSED_PAD src0_sel:WORD_1 src1_sel:DWORD
	v_fma_f16 v11, v39, v9, v11
	v_lshrrev_b32_e32 v7, 2, v7
	s_or_b64 vcc, s[0:1], vcc
	v_cvt_f32_f16_e32 v11, v11
	v_addc_co_u32_e32 v7, vcc, 0, v7, vcc
	v_cmp_gt_i32_e32 vcc, 31, v10
	v_cndmask_b32_e32 v7, v2, v7, vcc
	v_cmp_ne_u32_e32 vcc, 0, v3
	v_cndmask_b32_e64 v3, 0, 1, vcc
	v_cmp_eq_u32_e32 vcc, s10, v10
	v_cvt_f64_f32_e32 v[10:11], v11
	v_lshl_or_b32 v3, v3, 9, v2
	v_cndmask_b32_e32 v3, v7, v3, vcc
	v_lshrrev_b32_e32 v7, 16, v8
	v_and_or_b32 v3, v7, s11, v3
	v_mul_f64 v[7:8], v[10:11], s[4:5]
	v_and_b32_e32 v1, 0xffff, v1
	v_lshl_or_b32 v1, v3, 16, v1
	v_mov_b32_e32 v3, s2
	v_add_co_u32_e32 v5, vcc, s3, v5
	v_addc_co_u32_e32 v6, vcc, v6, v3, vcc
	global_store_dword v[5:6], v1, off
	v_and_or_b32 v1, v8, s6, v7
	v_cmp_ne_u32_e32 vcc, 0, v1
	v_cndmask_b32_e64 v1, 0, 1, vcc
	v_lshrrev_b32_e32 v3, 8, v8
	v_bfe_u32 v7, v8, 20, 11
	v_and_or_b32 v1, v3, s7, v1
	v_sub_u32_e32 v10, 0x3f1, v7
	v_or_b32_e32 v3, 0x1000, v1
	v_med3_i32 v10, v10, 0, 13
	v_lshrrev_b32_e32 v11, v10, v3
	v_lshlrev_b32_e32 v10, v10, v11
	v_mul_f16_sdwa v9, v39, v9 dst_sel:DWORD dst_unused:UNUSED_PAD src0_sel:WORD_1 src1_sel:DWORD
	v_cmp_ne_u32_e32 vcc, v10, v3
	v_fma_f16 v9, v39, v12, -v9
	v_cndmask_b32_e64 v3, 0, 1, vcc
	v_add_u32_e32 v7, 0xfffffc10, v7
	v_cvt_f32_f16_e32 v9, v9
	v_or_b32_e32 v3, v11, v3
	v_lshl_or_b32 v10, v7, 12, v1
	v_cmp_gt_i32_e32 vcc, 1, v7
	v_cndmask_b32_e32 v3, v10, v3, vcc
	v_and_b32_e32 v10, 7, v3
	v_cmp_lt_i32_e32 vcc, 5, v10
	v_cmp_eq_u32_e64 s[0:1], 3, v10
	v_cvt_f64_f32_e32 v[9:10], v9
	v_lshrrev_b32_e32 v3, 2, v3
	s_or_b64 vcc, s[0:1], vcc
	v_addc_co_u32_e32 v3, vcc, 0, v3, vcc
	v_mul_f64 v[9:10], v[9:10], s[4:5]
	v_cmp_gt_i32_e32 vcc, 31, v7
	v_cndmask_b32_e32 v3, v2, v3, vcc
	v_cmp_ne_u32_e32 vcc, 0, v1
	v_cndmask_b32_e64 v1, 0, 1, vcc
	v_lshl_or_b32 v1, v1, 9, v2
	v_cmp_eq_u32_e32 vcc, s10, v7
	v_cndmask_b32_e32 v1, v3, v1, vcc
	v_lshrrev_b32_e32 v3, 16, v8
	v_and_or_b32 v1, v3, s11, v1
	v_and_or_b32 v3, v10, s6, v9
	v_cmp_ne_u32_e32 vcc, 0, v3
	v_cndmask_b32_e64 v3, 0, 1, vcc
	v_lshrrev_b32_e32 v7, 8, v10
	v_bfe_u32 v8, v10, 20, 11
	v_and_or_b32 v3, v7, s7, v3
	v_sub_u32_e32 v9, 0x3f1, v8
	v_or_b32_e32 v7, 0x1000, v3
	v_med3_i32 v9, v9, 0, 13
	v_lshrrev_b32_e32 v11, v9, v7
	v_lshlrev_b32_e32 v9, v9, v11
	v_cmp_ne_u32_e32 vcc, v9, v7
	v_cndmask_b32_e64 v7, 0, 1, vcc
	v_add_u32_e32 v8, 0xfffffc10, v8
	v_or_b32_e32 v7, v11, v7
	v_lshl_or_b32 v9, v8, 12, v3
	v_cmp_gt_i32_e32 vcc, 1, v8
	v_cndmask_b32_e32 v7, v9, v7, vcc
	v_and_b32_e32 v9, 7, v7
	v_cmp_lt_i32_e32 vcc, 5, v9
	v_cmp_eq_u32_e64 s[0:1], 3, v9
	v_lshrrev_b32_e32 v9, 16, v0
	v_lshrrev_b32_e32 v7, 2, v7
	s_or_b64 vcc, s[0:1], vcc
	v_mul_f16_sdwa v11, v38, v9 dst_sel:DWORD dst_unused:UNUSED_PAD src0_sel:WORD_1 src1_sel:DWORD
	v_addc_co_u32_e32 v7, vcc, 0, v7, vcc
	v_fma_f16 v11, v38, v0, v11
	v_cmp_gt_i32_e32 vcc, 31, v8
	v_cvt_f32_f16_e32 v11, v11
	v_cndmask_b32_e32 v7, v2, v7, vcc
	v_cmp_ne_u32_e32 vcc, 0, v3
	v_cndmask_b32_e64 v3, 0, 1, vcc
	v_lshl_or_b32 v3, v3, 9, v2
	v_cmp_eq_u32_e32 vcc, s10, v8
	v_cndmask_b32_e32 v3, v7, v3, vcc
	v_cvt_f64_f32_e32 v[7:8], v11
	v_lshrrev_b32_e32 v10, 16, v10
	v_and_or_b32 v3, v10, s11, v3
	v_and_b32_e32 v1, 0xffff, v1
	v_mul_f64 v[7:8], v[7:8], s[4:5]
	v_lshl_or_b32 v1, v3, 16, v1
	v_mov_b32_e32 v3, s2
	v_add_co_u32_e32 v5, vcc, s3, v5
	v_addc_co_u32_e32 v6, vcc, v6, v3, vcc
	global_store_dword v[5:6], v1, off
	v_and_or_b32 v1, v8, s6, v7
	v_cmp_ne_u32_e32 vcc, 0, v1
	v_cndmask_b32_e64 v1, 0, 1, vcc
	v_lshrrev_b32_e32 v3, 8, v8
	v_bfe_u32 v7, v8, 20, 11
	v_and_or_b32 v3, v3, s7, v1
	v_sub_u32_e32 v10, 0x3f1, v7
	v_or_b32_e32 v1, 0x1000, v3
	v_med3_i32 v10, v10, 0, 13
	v_lshrrev_b32_e32 v11, v10, v1
	v_mul_f16_sdwa v0, v38, v0 dst_sel:DWORD dst_unused:UNUSED_PAD src0_sel:WORD_1 src1_sel:DWORD
	v_lshlrev_b32_e32 v10, v10, v11
	v_fma_f16 v0, v38, v9, -v0
	v_cmp_ne_u32_e32 vcc, v10, v1
	v_cvt_f32_f16_e32 v0, v0
	v_cndmask_b32_e64 v1, 0, 1, vcc
	v_add_u32_e32 v7, 0xfffffc10, v7
	v_or_b32_e32 v1, v11, v1
	v_lshl_or_b32 v10, v7, 12, v3
	v_cmp_gt_i32_e32 vcc, 1, v7
	v_cndmask_b32_e32 v1, v10, v1, vcc
	v_and_b32_e32 v10, 7, v1
	v_lshrrev_b32_e32 v9, 2, v1
	v_cvt_f64_f32_e32 v[0:1], v0
	v_cmp_lt_i32_e32 vcc, 5, v10
	v_cmp_eq_u32_e64 s[0:1], 3, v10
	s_or_b64 vcc, s[0:1], vcc
	v_mul_f64 v[0:1], v[0:1], s[4:5]
	v_addc_co_u32_e32 v9, vcc, 0, v9, vcc
	v_cmp_gt_i32_e32 vcc, 31, v7
	v_cndmask_b32_e32 v9, v2, v9, vcc
	v_cmp_ne_u32_e32 vcc, 0, v3
	v_cndmask_b32_e64 v3, 0, 1, vcc
	v_lshl_or_b32 v3, v3, 9, v2
	v_cmp_eq_u32_e32 vcc, s10, v7
	v_and_or_b32 v0, v1, s6, v0
	v_cndmask_b32_e32 v3, v9, v3, vcc
	v_lshrrev_b32_e32 v7, 16, v8
	v_cmp_ne_u32_e32 vcc, 0, v0
	v_and_or_b32 v3, v7, s11, v3
	v_cndmask_b32_e64 v0, 0, 1, vcc
	v_lshrrev_b32_e32 v7, 8, v1
	v_bfe_u32 v8, v1, 20, 11
	v_and_or_b32 v0, v7, s7, v0
	v_sub_u32_e32 v9, 0x3f1, v8
	v_or_b32_e32 v7, 0x1000, v0
	v_med3_i32 v9, v9, 0, 13
	v_lshrrev_b32_e32 v10, v9, v7
	v_lshlrev_b32_e32 v9, v9, v10
	v_cmp_ne_u32_e32 vcc, v9, v7
	v_cndmask_b32_e64 v7, 0, 1, vcc
	v_add_u32_e32 v9, 0xfffffc10, v8
	v_or_b32_e32 v7, v10, v7
	v_lshl_or_b32 v8, v9, 12, v0
	v_cmp_gt_i32_e32 vcc, 1, v9
	v_cndmask_b32_e32 v7, v8, v7, vcc
	v_and_b32_e32 v8, 7, v7
	v_cmp_lt_i32_e32 vcc, 5, v8
	v_cmp_eq_u32_e64 s[0:1], 3, v8
	v_lshrrev_b32_e32 v7, 2, v7
	s_or_b64 vcc, s[0:1], vcc
	v_addc_co_u32_e32 v7, vcc, 0, v7, vcc
	v_cmp_gt_i32_e32 vcc, 31, v9
	v_lshrrev_b32_e32 v11, 16, v4
	v_cndmask_b32_e32 v10, v2, v7, vcc
	v_mul_f16_sdwa v7, v37, v11 dst_sel:DWORD dst_unused:UNUSED_PAD src0_sel:WORD_1 src1_sel:DWORD
	v_fma_f16 v7, v37, v4, v7
	v_cvt_f32_f16_e32 v7, v7
	v_cmp_ne_u32_e32 vcc, 0, v0
	v_cndmask_b32_e64 v0, 0, 1, vcc
	v_lshl_or_b32 v0, v0, 9, v2
	v_cvt_f64_f32_e32 v[7:8], v7
	v_cmp_eq_u32_e32 vcc, s10, v9
	v_cndmask_b32_e32 v9, v10, v0, vcc
	v_lshrrev_b32_e32 v10, 16, v1
	v_mul_f64 v[0:1], v[7:8], s[4:5]
	v_mad_u64_u32 v[5:6], s[0:1], s8, v13, v[5:6]
	v_and_or_b32 v7, v10, s11, v9
	v_and_b32_e32 v3, 0xffff, v3
	v_lshl_or_b32 v3, v7, 16, v3
	v_add_u32_e32 v6, s9, v6
	global_store_dword v[5:6], v3, off
	v_and_or_b32 v0, v1, s6, v0
	v_cmp_ne_u32_e32 vcc, 0, v0
	v_cndmask_b32_e64 v0, 0, 1, vcc
	v_lshrrev_b32_e32 v3, 8, v1
	v_bfe_u32 v7, v1, 20, 11
	v_and_or_b32 v0, v3, s7, v0
	v_sub_u32_e32 v8, 0x3f1, v7
	v_or_b32_e32 v3, 0x1000, v0
	v_med3_i32 v8, v8, 0, 13
	v_lshrrev_b32_e32 v9, v8, v3
	v_lshlrev_b32_e32 v8, v8, v9
	v_mul_f16_sdwa v4, v37, v4 dst_sel:DWORD dst_unused:UNUSED_PAD src0_sel:WORD_1 src1_sel:DWORD
	v_cmp_ne_u32_e32 vcc, v8, v3
	v_fma_f16 v4, v37, v11, -v4
	v_cndmask_b32_e64 v3, 0, 1, vcc
	v_add_u32_e32 v7, 0xfffffc10, v7
	v_cvt_f32_f16_e32 v4, v4
	v_or_b32_e32 v3, v9, v3
	v_lshl_or_b32 v8, v7, 12, v0
	v_cmp_gt_i32_e32 vcc, 1, v7
	v_cndmask_b32_e32 v3, v8, v3, vcc
	v_and_b32_e32 v8, 7, v3
	v_cmp_lt_i32_e32 vcc, 5, v8
	v_cmp_eq_u32_e64 s[0:1], 3, v8
	v_lshrrev_b32_e32 v8, 2, v3
	v_cvt_f64_f32_e32 v[3:4], v4
	s_or_b64 vcc, s[0:1], vcc
	v_addc_co_u32_e32 v8, vcc, 0, v8, vcc
	v_mul_f64 v[3:4], v[3:4], s[4:5]
	v_cmp_gt_i32_e32 vcc, 31, v7
	v_cndmask_b32_e32 v8, v2, v8, vcc
	v_cmp_ne_u32_e32 vcc, 0, v0
	v_cndmask_b32_e64 v0, 0, 1, vcc
	v_lshl_or_b32 v0, v0, 9, v2
	v_cmp_eq_u32_e32 vcc, s10, v7
	v_cndmask_b32_e32 v0, v8, v0, vcc
	v_lshrrev_b32_e32 v1, 16, v1
	v_and_or_b32 v7, v1, s11, v0
	v_and_or_b32 v0, v4, s6, v3
	v_cmp_ne_u32_e32 vcc, 0, v0
	v_cndmask_b32_e64 v0, 0, 1, vcc
	v_lshrrev_b32_e32 v1, 8, v4
	v_bfe_u32 v3, v4, 20, 11
	v_and_or_b32 v0, v1, s7, v0
	v_sub_u32_e32 v8, 0x3f1, v3
	v_or_b32_e32 v1, 0x1000, v0
	v_med3_i32 v8, v8, 0, 13
	v_lshrrev_b32_e32 v9, v8, v1
	v_lshlrev_b32_e32 v8, v8, v9
	v_cmp_ne_u32_e32 vcc, v8, v1
	v_cndmask_b32_e64 v1, 0, 1, vcc
	v_add_u32_e32 v3, 0xfffffc10, v3
	v_or_b32_e32 v1, v9, v1
	v_lshl_or_b32 v8, v3, 12, v0
	v_cmp_gt_i32_e32 vcc, 1, v3
	v_cndmask_b32_e32 v1, v8, v1, vcc
	v_and_b32_e32 v8, 7, v1
	v_cmp_lt_i32_e32 vcc, 5, v8
	v_cmp_eq_u32_e64 s[0:1], 3, v8
	ds_read_b32 v8, v35 offset:3744
	v_lshrrev_b32_e32 v1, 2, v1
	s_or_b64 vcc, s[0:1], vcc
	v_addc_co_u32_e32 v1, vcc, 0, v1, vcc
	s_waitcnt lgkmcnt(0)
	v_lshrrev_b32_e32 v9, 16, v8
	v_mul_f16_sdwa v10, v36, v9 dst_sel:DWORD dst_unused:UNUSED_PAD src0_sel:WORD_1 src1_sel:DWORD
	v_fma_f16 v10, v36, v8, v10
	v_cmp_gt_i32_e32 vcc, 31, v3
	v_cvt_f32_f16_e32 v10, v10
	v_cndmask_b32_e32 v1, v2, v1, vcc
	v_cmp_ne_u32_e32 vcc, 0, v0
	v_cndmask_b32_e64 v0, 0, 1, vcc
	v_lshl_or_b32 v0, v0, 9, v2
	v_cmp_eq_u32_e32 vcc, s10, v3
	v_cndmask_b32_e32 v3, v1, v0, vcc
	v_cvt_f64_f32_e32 v[0:1], v10
	v_lshrrev_b32_e32 v4, 16, v4
	v_and_or_b32 v3, v4, s11, v3
	v_and_b32_e32 v4, 0xffff, v7
	v_mul_f64 v[0:1], v[0:1], s[4:5]
	v_lshl_or_b32 v7, v3, 16, v4
	v_mov_b32_e32 v4, s2
	v_add_co_u32_e32 v3, vcc, s3, v5
	v_addc_co_u32_e32 v4, vcc, v6, v4, vcc
	global_store_dword v[3:4], v7, off
	v_and_or_b32 v0, v1, s6, v0
	v_cmp_ne_u32_e32 vcc, 0, v0
	v_cndmask_b32_e64 v0, 0, 1, vcc
	v_lshrrev_b32_e32 v5, 8, v1
	v_bfe_u32 v6, v1, 20, 11
	v_and_or_b32 v0, v5, s7, v0
	v_sub_u32_e32 v7, 0x3f1, v6
	v_or_b32_e32 v5, 0x1000, v0
	v_med3_i32 v7, v7, 0, 13
	v_lshrrev_b32_e32 v10, v7, v5
	v_lshlrev_b32_e32 v7, v7, v10
	v_mul_f16_sdwa v8, v36, v8 dst_sel:DWORD dst_unused:UNUSED_PAD src0_sel:WORD_1 src1_sel:DWORD
	v_cmp_ne_u32_e32 vcc, v7, v5
	v_fma_f16 v8, v36, v9, -v8
	v_cndmask_b32_e64 v5, 0, 1, vcc
	v_add_u32_e32 v7, 0xfffffc10, v6
	v_cvt_f32_f16_e32 v8, v8
	v_or_b32_e32 v5, v10, v5
	v_lshl_or_b32 v6, v7, 12, v0
	v_cmp_gt_i32_e32 vcc, 1, v7
	v_cndmask_b32_e32 v5, v6, v5, vcc
	v_and_b32_e32 v6, 7, v5
	v_cmp_lt_i32_e32 vcc, 5, v6
	v_cmp_eq_u32_e64 s[0:1], 3, v6
	v_lshrrev_b32_e32 v9, 2, v5
	v_cvt_f64_f32_e32 v[5:6], v8
	s_or_b64 vcc, s[0:1], vcc
	v_addc_co_u32_e32 v8, vcc, 0, v9, vcc
	v_mul_f64 v[5:6], v[5:6], s[4:5]
	v_cmp_gt_i32_e32 vcc, 31, v7
	v_cndmask_b32_e32 v8, v2, v8, vcc
	v_cmp_ne_u32_e32 vcc, 0, v0
	v_cndmask_b32_e64 v0, 0, 1, vcc
	v_lshl_or_b32 v0, v0, 9, v2
	v_cmp_eq_u32_e32 vcc, s10, v7
	v_cndmask_b32_e32 v0, v8, v0, vcc
	v_lshrrev_b32_e32 v1, 16, v1
	v_and_or_b32 v0, v1, s11, v0
	v_and_or_b32 v1, v6, s6, v5
	v_cmp_ne_u32_e32 vcc, 0, v1
	v_cndmask_b32_e64 v1, 0, 1, vcc
	v_lshrrev_b32_e32 v5, 8, v6
	v_bfe_u32 v7, v6, 20, 11
	v_and_or_b32 v1, v5, s7, v1
	v_sub_u32_e32 v8, 0x3f1, v7
	v_or_b32_e32 v5, 0x1000, v1
	v_med3_i32 v8, v8, 0, 13
	v_lshrrev_b32_e32 v9, v8, v5
	v_lshlrev_b32_e32 v8, v8, v9
	v_cmp_ne_u32_e32 vcc, v8, v5
	v_cndmask_b32_e64 v5, 0, 1, vcc
	v_add_u32_e32 v7, 0xfffffc10, v7
	v_or_b32_e32 v5, v9, v5
	v_lshl_or_b32 v8, v7, 12, v1
	v_cmp_gt_i32_e32 vcc, 1, v7
	v_cndmask_b32_e32 v5, v8, v5, vcc
	v_and_b32_e32 v8, 7, v5
	v_cmp_lt_i32_e32 vcc, 5, v8
	v_cmp_eq_u32_e64 s[0:1], 3, v8
	v_lshrrev_b32_e32 v5, 2, v5
	s_or_b64 vcc, s[0:1], vcc
	v_addc_co_u32_e32 v5, vcc, 0, v5, vcc
	v_cmp_gt_i32_e32 vcc, 31, v7
	v_cndmask_b32_e32 v5, v2, v5, vcc
	v_cmp_ne_u32_e32 vcc, 0, v1
	v_cndmask_b32_e64 v1, 0, 1, vcc
	v_lshl_or_b32 v1, v1, 9, v2
	v_cmp_eq_u32_e32 vcc, s10, v7
	v_cndmask_b32_e32 v1, v5, v1, vcc
	v_lshrrev_b32_e32 v2, 16, v6
	v_and_or_b32 v1, v2, s11, v1
	v_and_b32_e32 v0, 0xffff, v0
	v_lshl_or_b32 v2, v1, 16, v0
	v_mov_b32_e32 v1, s2
	v_add_co_u32_e32 v0, vcc, s3, v3
	v_addc_co_u32_e32 v1, vcc, v4, v1, vcc
	global_store_dword v[0:1], v2, off
.LBB0_10:
	s_endpgm
	.section	.rodata,"a",@progbits
	.p2align	6, 0x0
	.amdhsa_kernel bluestein_single_back_len1053_dim1_half_op_CI_CI
		.amdhsa_group_segment_fixed_size 4212
		.amdhsa_private_segment_fixed_size 0
		.amdhsa_kernarg_size 104
		.amdhsa_user_sgpr_count 6
		.amdhsa_user_sgpr_private_segment_buffer 1
		.amdhsa_user_sgpr_dispatch_ptr 0
		.amdhsa_user_sgpr_queue_ptr 0
		.amdhsa_user_sgpr_kernarg_segment_ptr 1
		.amdhsa_user_sgpr_dispatch_id 0
		.amdhsa_user_sgpr_flat_scratch_init 0
		.amdhsa_user_sgpr_private_segment_size 0
		.amdhsa_uses_dynamic_stack 0
		.amdhsa_system_sgpr_private_segment_wavefront_offset 0
		.amdhsa_system_sgpr_workgroup_id_x 1
		.amdhsa_system_sgpr_workgroup_id_y 0
		.amdhsa_system_sgpr_workgroup_id_z 0
		.amdhsa_system_sgpr_workgroup_info 0
		.amdhsa_system_vgpr_workitem_id 0
		.amdhsa_next_free_vgpr 211
		.amdhsa_next_free_sgpr 26
		.amdhsa_reserve_vcc 1
		.amdhsa_reserve_flat_scratch 0
		.amdhsa_float_round_mode_32 0
		.amdhsa_float_round_mode_16_64 0
		.amdhsa_float_denorm_mode_32 3
		.amdhsa_float_denorm_mode_16_64 3
		.amdhsa_dx10_clamp 1
		.amdhsa_ieee_mode 1
		.amdhsa_fp16_overflow 0
		.amdhsa_exception_fp_ieee_invalid_op 0
		.amdhsa_exception_fp_denorm_src 0
		.amdhsa_exception_fp_ieee_div_zero 0
		.amdhsa_exception_fp_ieee_overflow 0
		.amdhsa_exception_fp_ieee_underflow 0
		.amdhsa_exception_fp_ieee_inexact 0
		.amdhsa_exception_int_div_zero 0
	.end_amdhsa_kernel
	.text
.Lfunc_end0:
	.size	bluestein_single_back_len1053_dim1_half_op_CI_CI, .Lfunc_end0-bluestein_single_back_len1053_dim1_half_op_CI_CI
                                        ; -- End function
	.section	.AMDGPU.csdata,"",@progbits
; Kernel info:
; codeLenInByte = 18252
; NumSgprs: 30
; NumVgprs: 211
; ScratchSize: 0
; MemoryBound: 0
; FloatMode: 240
; IeeeMode: 1
; LDSByteSize: 4212 bytes/workgroup (compile time only)
; SGPRBlocks: 3
; VGPRBlocks: 52
; NumSGPRsForWavesPerEU: 30
; NumVGPRsForWavesPerEU: 211
; Occupancy: 1
; WaveLimiterHint : 1
; COMPUTE_PGM_RSRC2:SCRATCH_EN: 0
; COMPUTE_PGM_RSRC2:USER_SGPR: 6
; COMPUTE_PGM_RSRC2:TRAP_HANDLER: 0
; COMPUTE_PGM_RSRC2:TGID_X_EN: 1
; COMPUTE_PGM_RSRC2:TGID_Y_EN: 0
; COMPUTE_PGM_RSRC2:TGID_Z_EN: 0
; COMPUTE_PGM_RSRC2:TIDIG_COMP_CNT: 0
	.type	__hip_cuid_f288c977d61046d7,@object ; @__hip_cuid_f288c977d61046d7
	.section	.bss,"aw",@nobits
	.globl	__hip_cuid_f288c977d61046d7
__hip_cuid_f288c977d61046d7:
	.byte	0                               ; 0x0
	.size	__hip_cuid_f288c977d61046d7, 1

	.ident	"AMD clang version 19.0.0git (https://github.com/RadeonOpenCompute/llvm-project roc-6.4.0 25133 c7fe45cf4b819c5991fe208aaa96edf142730f1d)"
	.section	".note.GNU-stack","",@progbits
	.addrsig
	.addrsig_sym __hip_cuid_f288c977d61046d7
	.amdgpu_metadata
---
amdhsa.kernels:
  - .args:
      - .actual_access:  read_only
        .address_space:  global
        .offset:         0
        .size:           8
        .value_kind:     global_buffer
      - .actual_access:  read_only
        .address_space:  global
        .offset:         8
        .size:           8
        .value_kind:     global_buffer
      - .actual_access:  read_only
        .address_space:  global
        .offset:         16
        .size:           8
        .value_kind:     global_buffer
      - .actual_access:  read_only
        .address_space:  global
        .offset:         24
        .size:           8
        .value_kind:     global_buffer
      - .actual_access:  read_only
        .address_space:  global
        .offset:         32
        .size:           8
        .value_kind:     global_buffer
      - .offset:         40
        .size:           8
        .value_kind:     by_value
      - .address_space:  global
        .offset:         48
        .size:           8
        .value_kind:     global_buffer
      - .address_space:  global
        .offset:         56
        .size:           8
        .value_kind:     global_buffer
      - .address_space:  global
        .offset:         64
        .size:           8
        .value_kind:     global_buffer
      - .address_space:  global
        .offset:         72
        .size:           8
        .value_kind:     global_buffer
      - .offset:         80
        .size:           4
        .value_kind:     by_value
      - .address_space:  global
        .offset:         88
        .size:           8
        .value_kind:     global_buffer
      - .address_space:  global
        .offset:         96
        .size:           8
        .value_kind:     global_buffer
    .group_segment_fixed_size: 4212
    .kernarg_segment_align: 8
    .kernarg_segment_size: 104
    .language:       OpenCL C
    .language_version:
      - 2
      - 0
    .max_flat_workgroup_size: 117
    .name:           bluestein_single_back_len1053_dim1_half_op_CI_CI
    .private_segment_fixed_size: 0
    .sgpr_count:     30
    .sgpr_spill_count: 0
    .symbol:         bluestein_single_back_len1053_dim1_half_op_CI_CI.kd
    .uniform_work_group_size: 1
    .uses_dynamic_stack: false
    .vgpr_count:     211
    .vgpr_spill_count: 0
    .wavefront_size: 64
amdhsa.target:   amdgcn-amd-amdhsa--gfx906
amdhsa.version:
  - 1
  - 2
...

	.end_amdgpu_metadata
